;; amdgpu-corpus repo=ROCm/rocFFT kind=compiled arch=gfx950 opt=O3
	.text
	.amdgcn_target "amdgcn-amd-amdhsa--gfx950"
	.amdhsa_code_object_version 6
	.protected	bluestein_single_back_len1100_dim1_sp_op_CI_CI ; -- Begin function bluestein_single_back_len1100_dim1_sp_op_CI_CI
	.globl	bluestein_single_back_len1100_dim1_sp_op_CI_CI
	.p2align	8
	.type	bluestein_single_back_len1100_dim1_sp_op_CI_CI,@function
bluestein_single_back_len1100_dim1_sp_op_CI_CI: ; @bluestein_single_back_len1100_dim1_sp_op_CI_CI
; %bb.0:
	s_load_dwordx4 s[12:15], s[0:1], 0x28
	v_mul_u32_u24_e32 v1, 0x254, v0
	v_mov_b32_e32 v77, 0
	v_add_u32_sdwa v86, s2, v1 dst_sel:DWORD dst_unused:UNUSED_PAD src0_sel:DWORD src1_sel:WORD_1
	v_mov_b32_e32 v87, v77
	s_waitcnt lgkmcnt(0)
	v_cmp_gt_u64_e32 vcc, s[12:13], v[86:87]
	s_and_saveexec_b64 s[2:3], vcc
	s_cbranch_execz .LBB0_10
; %bb.1:
	s_load_dwordx4 s[4:7], s[0:1], 0x18
	s_load_dwordx4 s[8:11], s[0:1], 0x0
	v_mov_b32_e32 v2, s14
	v_mov_b32_e32 v3, s15
	s_movk_i32 s2, 0x6e
	s_waitcnt lgkmcnt(0)
	s_load_dwordx4 s[12:15], s[4:5], 0x0
	v_mul_lo_u16_sdwa v1, v1, s2 dst_sel:DWORD dst_unused:UNUSED_PAD src0_sel:WORD_1 src1_sel:DWORD
	v_sub_u16_e32 v76, v0, v1
	v_mov_b32_e32 v22, 0x1130
	v_lshlrev_b32_e32 v96, 3, v76
	s_waitcnt lgkmcnt(0)
	v_mad_u64_u32 v[0:1], s[2:3], s14, v86, 0
	v_mov_b32_e32 v4, v1
	v_mad_u64_u32 v[4:5], s[2:3], s15, v86, v[4:5]
	v_mov_b32_e32 v1, v4
	v_mad_u64_u32 v[4:5], s[2:3], s12, v76, 0
	v_mov_b32_e32 v6, v5
	v_mad_u64_u32 v[6:7], s[2:3], s13, v76, v[6:7]
	v_mov_b32_e32 v5, v6
	v_lshl_add_u64 v[0:1], v[0:1], 3, v[2:3]
	v_lshl_add_u64 v[0:1], v[4:5], 3, v[0:1]
	global_load_dwordx2 v[2:3], v[0:1], off
	v_mov_b32_e32 v97, v77
	v_mad_u64_u32 v[0:1], s[2:3], s12, v22, v[0:1]
	s_mul_i32 s4, s13, 0x1130
	v_lshl_add_u64 v[4:5], s[8:9], 0, v[96:97]
	v_add_u32_e32 v1, s4, v1
	s_movk_i32 s2, 0x1000
	v_mov_b32_e32 v20, 0xfffff240
	v_add_co_u32_e32 v4, vcc, s2, v4
	v_mad_u64_u32 v[6:7], s[2:3], s12, v20, v[0:1]
	s_mul_i32 s2, s13, 0xfffff240
	s_sub_i32 s5, s2, s12
	v_addc_co_u32_e32 v5, vcc, 0, v5, vcc
	v_add_u32_e32 v7, s5, v7
	global_load_dwordx2 v[94:95], v96, s[8:9]
	global_load_dwordx2 v[90:91], v[4:5], off offset:304
	v_add_u32_e32 v28, 0x1400, v96
	global_load_dwordx2 v[0:1], v[0:1], off
	s_nop 0
	global_load_dwordx2 v[8:9], v[6:7], off
	global_load_dwordx2 v[92:93], v96, s[8:9] offset:880
	v_mad_u64_u32 v[6:7], s[2:3], s12, v22, v[6:7]
	v_add_u32_e32 v7, s4, v7
	v_mad_u64_u32 v[10:11], s[2:3], s12, v20, v[6:7]
	v_add_u32_e32 v11, s5, v11
	global_load_dwordx2 v[88:89], v[4:5], off offset:1184
	v_add_u32_e32 v29, 0xc00, v96
	global_load_dwordx2 v[6:7], v[6:7], off
	s_nop 0
	global_load_dwordx2 v[12:13], v[10:11], off
	global_load_dwordx2 v[84:85], v96, s[8:9] offset:1760
	v_mad_u64_u32 v[10:11], s[2:3], s12, v22, v[10:11]
	v_add_u32_e32 v11, s4, v11
	global_load_dwordx2 v[14:15], v[10:11], off
	global_load_dwordx2 v[82:83], v[4:5], off offset:2064
	v_mad_u64_u32 v[10:11], s[2:3], s12, v20, v[10:11]
	v_add_u32_e32 v11, s5, v11
	global_load_dwordx2 v[16:17], v[10:11], off
	global_load_dwordx2 v[80:81], v96, s[8:9] offset:2640
	v_mad_u64_u32 v[10:11], s[2:3], s12, v22, v[10:11]
	v_add_u32_e32 v11, s4, v11
	global_load_dwordx2 v[18:19], v[10:11], off
	global_load_dwordx2 v[78:79], v[4:5], off offset:2944
	v_mad_u64_u32 v[10:11], s[2:3], s12, v20, v[10:11]
	v_add_u32_e32 v11, s5, v11
	global_load_dwordx2 v[20:21], v[10:11], off
	global_load_dwordx2 v[74:75], v96, s[8:9] offset:3520
	v_mad_u64_u32 v[10:11], s[2:3], s12, v22, v[10:11]
	v_add_u32_e32 v11, s4, v11
	global_load_dwordx2 v[72:73], v[4:5], off offset:3824
	global_load_dwordx2 v[22:23], v[10:11], off
	s_load_dwordx4 s[4:7], s[6:7], 0x0
	s_mov_b64 s[2:3], 0x6e
	v_lshl_add_u64 v[44:45], v[76:77], 0, s[2:3]
	v_lshlrev_b32_e32 v46, 1, v76
	v_lshlrev_b32_e32 v87, 4, v76
	v_and_b32_e32 v47, 1, v76
	v_lshlrev_b32_e32 v77, 4, v44
	s_load_dwordx2 s[2:3], s[0:1], 0x38
	s_movk_i32 s0, 0xfc
	v_add_u32_e32 v45, 0x1b8, v46
	v_add_u32_e32 v54, 0x294, v46
	;; [unrolled: 1-line block ×3, first 2 shown]
	s_waitcnt vmcnt(18)
	v_mul_f32_e32 v4, v3, v95
	v_mul_f32_e32 v5, v2, v95
	v_fmac_f32_e32 v4, v2, v94
	v_fma_f32 v5, v3, v94, -v5
	s_waitcnt vmcnt(16)
	v_mul_f32_e32 v2, v1, v91
	v_mul_f32_e32 v3, v0, v91
	v_fmac_f32_e32 v2, v0, v90
	v_fma_f32 v3, v1, v90, -v3
	;; [unrolled: 5-line block ×3, first 2 shown]
	ds_write_b64 v96, v[2:3] offset:4400
	ds_write2_b64 v96, v[4:5], v[0:1] offset1:110
	s_waitcnt vmcnt(12)
	v_mul_f32_e32 v0, v7, v89
	v_mul_f32_e32 v1, v6, v89
	v_fmac_f32_e32 v0, v6, v88
	v_fma_f32 v1, v7, v88, -v1
	s_waitcnt vmcnt(8)
	v_mul_f32_e32 v4, v15, v83
	v_mul_f32_e32 v5, v14, v83
	v_fmac_f32_e32 v4, v14, v82
	v_fma_f32 v5, v15, v82, -v5
	v_mul_f32_e32 v2, v13, v85
	v_mul_f32_e32 v3, v12, v85
	ds_write2_b64 v28, v[0:1], v[4:5] offset0:20 offset1:130
	s_waitcnt vmcnt(6)
	v_mul_f32_e32 v4, v17, v81
	v_mul_f32_e32 v0, v16, v81
	v_fmac_f32_e32 v2, v12, v84
	v_fma_f32 v3, v13, v84, -v3
	v_fmac_f32_e32 v4, v16, v80
	v_fma_f32 v5, v17, v80, -v0
	v_add_u32_e32 v0, 0x400, v96
	s_waitcnt vmcnt(4)
	v_mul_f32_e32 v1, v18, v79
	ds_write2_b64 v0, v[2:3], v[4:5] offset0:92 offset1:202
	v_fma_f32 v3, v19, v78, -v1
	s_waitcnt vmcnt(2)
	v_mul_f32_e32 v4, v21, v75
	v_mul_f32_e32 v1, v20, v75
	v_fmac_f32_e32 v4, v20, v74
	v_fma_f32 v5, v21, v74, -v1
	v_mul_f32_e32 v2, v19, v79
	ds_write_b64 v96, v[4:5] offset:3520
	s_waitcnt vmcnt(0)
	v_mul_f32_e32 v4, v23, v73
	v_mul_f32_e32 v1, v22, v73
	v_fmac_f32_e32 v2, v18, v78
	v_fmac_f32_e32 v4, v22, v72
	v_fma_f32 v5, v23, v72, -v1
	v_add_u32_e32 v1, 0x1800, v96
	ds_write2_b64 v1, v[2:3], v[4:5] offset0:112 offset1:222
	s_waitcnt lgkmcnt(0)
	s_barrier
	ds_read2_b64 v[2:5], v96 offset1:110
	ds_read2_b64 v[10:13], v28 offset0:20 offset1:130
	ds_read2_b64 v[6:9], v29 offset0:56 offset1:166
	;; [unrolled: 1-line block ×4, first 2 shown]
	s_waitcnt lgkmcnt(0)
	v_pk_add_f32 v[10:11], v[4:5], v[10:11] neg_lo:[0,1] neg_hi:[0,1]
	v_pk_add_f32 v[16:17], v[2:3], v[8:9] neg_lo:[0,1] neg_hi:[0,1]
	v_pk_fma_f32 v[8:9], v[4:5], 2.0, v[10:11] op_sel_hi:[1,0,1] neg_lo:[0,0,1] neg_hi:[0,0,1]
	v_pk_add_f32 v[4:5], v[18:19], v[12:13] neg_lo:[0,1] neg_hi:[0,1]
	v_pk_fma_f32 v[14:15], v[2:3], 2.0, v[16:17] op_sel_hi:[1,0,1] neg_lo:[0,0,1] neg_hi:[0,0,1]
	v_pk_fma_f32 v[2:3], v[18:19], 2.0, v[4:5] op_sel_hi:[1,0,1] neg_lo:[0,0,1] neg_hi:[0,0,1]
	v_pk_add_f32 v[22:23], v[20:21], v[22:23] neg_lo:[0,1] neg_hi:[0,1]
	v_pk_add_f32 v[26:27], v[6:7], v[24:25] neg_lo:[0,1] neg_hi:[0,1]
	v_pk_fma_f32 v[20:21], v[20:21], 2.0, v[22:23] op_sel_hi:[1,0,1] neg_lo:[0,0,1] neg_hi:[0,0,1]
	v_lshlrev_b32_e32 v12, 3, v46
	v_pk_fma_f32 v[24:25], v[6:7], 2.0, v[26:27] op_sel_hi:[1,0,1] neg_lo:[0,0,1] neg_hi:[0,0,1]
	s_barrier
	ds_write_b128 v87, v[14:17]
	ds_write_b128 v77, v[8:11]
	ds_write_b128 v12, v[2:5] offset:3520
	ds_write_b128 v12, v[20:23] offset:5280
	;; [unrolled: 1-line block ×3, first 2 shown]
	v_lshlrev_b32_e32 v2, 3, v47
	s_waitcnt lgkmcnt(0)
	s_barrier
	global_load_dwordx2 v[52:53], v2, s[10:11]
	ds_read2_b64 v[2:5], v28 offset0:20 offset1:130
	ds_read2_b64 v[6:9], v1 offset0:112 offset1:222
	;; [unrolled: 1-line block ×3, first 2 shown]
	ds_read2_b64 v[14:17], v96 offset1:110
	ds_read2_b64 v[40:43], v0 offset0:92 offset1:202
	s_waitcnt lgkmcnt(0)
	s_barrier
	s_waitcnt vmcnt(0)
	v_pk_mul_f32 v[18:19], v[2:3], v[52:53] op_sel:[0,1]
	s_nop 0
	v_pk_fma_f32 v[28:29], v[2:3], v[52:53], v[18:19] op_sel:[0,0,1] op_sel_hi:[1,1,0] neg_lo:[0,0,1] neg_hi:[0,0,1]
	v_pk_fma_f32 v[2:3], v[2:3], v[52:53], v[18:19] op_sel:[0,0,1] op_sel_hi:[1,0,0]
	v_pk_mul_f32 v[20:21], v[4:5], v[52:53] op_sel:[0,1]
	v_mov_b32_e32 v29, v3
	v_lshlrev_b32_e32 v2, 1, v44
	v_and_or_b32 v3, v46, s0, v47
	s_movk_i32 s0, 0x1fc
	v_pk_mul_f32 v[22:23], v[6:7], v[52:53] op_sel:[0,1]
	v_pk_mul_f32 v[24:25], v[8:9], v[52:53] op_sel:[0,1]
	;; [unrolled: 1-line block ×3, first 2 shown]
	v_and_or_b32 v2, v2, s0, v47
	s_movk_i32 s0, 0x3fc
	v_pk_fma_f32 v[18:19], v[4:5], v[52:53], v[20:21] op_sel:[0,0,1] op_sel_hi:[1,1,0] neg_lo:[0,0,1] neg_hi:[0,0,1]
	v_pk_fma_f32 v[4:5], v[4:5], v[52:53], v[20:21] op_sel:[0,0,1] op_sel_hi:[1,0,0]
	v_pk_fma_f32 v[20:21], v[6:7], v[52:53], v[22:23] op_sel:[0,0,1] op_sel_hi:[1,1,0] neg_lo:[0,0,1] neg_hi:[0,0,1]
	v_pk_fma_f32 v[6:7], v[6:7], v[52:53], v[22:23] op_sel:[0,0,1] op_sel_hi:[1,0,0]
	;; [unrolled: 2-line block ×4, first 2 shown]
	v_lshlrev_b32_e32 v121, 3, v2
	v_and_or_b32 v2, v45, s0, v47
	v_mov_b32_e32 v23, v13
	v_mov_b32_e32 v19, v5
	;; [unrolled: 1-line block ×4, first 2 shown]
	v_lshlrev_b32_e32 v123, 3, v2
	v_and_or_b32 v2, v54, s0, v47
	s_movk_i32 s0, 0x7fc
	v_pk_add_f32 v[22:23], v[14:15], v[22:23] neg_lo:[0,1] neg_hi:[0,1]
	v_pk_add_f32 v[26:27], v[16:17], v[28:29] neg_lo:[0,1] neg_hi:[0,1]
	;; [unrolled: 1-line block ×5, first 2 shown]
	v_lshlrev_b32_e32 v125, 3, v2
	v_and_or_b32 v2, v55, s0, v47
	s_movk_i32 s0, 0x64
	v_pk_fma_f32 v[20:21], v[14:15], 2.0, v[22:23] op_sel_hi:[1,0,1] neg_lo:[0,0,1] neg_hi:[0,0,1]
	v_pk_fma_f32 v[24:25], v[16:17], 2.0, v[26:27] op_sel_hi:[1,0,1] neg_lo:[0,0,1] neg_hi:[0,0,1]
	;; [unrolled: 1-line block ×5, first 2 shown]
	v_lshlrev_b32_e32 v119, 3, v3
	v_lshlrev_b32_e32 v127, 3, v2
	v_cmp_gt_u16_e32 vcc, s0, v76
	ds_write2_b64 v119, v[20:21], v[22:23] offset1:2
	ds_write2_b64 v121, v[24:25], v[26:27] offset1:2
	;; [unrolled: 1-line block ×5, first 2 shown]
	s_waitcnt lgkmcnt(0)
	s_barrier
	s_waitcnt lgkmcnt(0)
                                        ; implicit-def: $vgpr40
                                        ; implicit-def: $vgpr42
	s_and_saveexec_b64 s[0:1], vcc
	s_cbranch_execz .LBB0_3
; %bb.2:
	ds_read2_b64 v[20:23], v96 offset1:100
	ds_read2_b64 v[24:27], v0 offset0:72 offset1:172
	v_add_u32_e32 v0, 0x800, v96
	ds_read2_b64 v[28:31], v0 offset0:144 offset1:244
	v_add_u32_e32 v0, 0x1000, v96
	ds_read2_b64 v[32:35], v0 offset0:88 offset1:188
	ds_read_b64 v[40:41], v96 offset:8000
	ds_read2_b64 v[36:39], v1 offset0:32 offset1:132
	s_waitcnt lgkmcnt(1)
	v_mov_b32_e32 v42, v41
.LBB0_3:
	s_or_b64 exec, exec, s[0:1]
	v_and_b32_e32 v97, 3, v76
	s_movk_i32 s0, 0x50
	v_mov_b64_e32 v[0:1], s[10:11]
	v_mad_u64_u32 v[46:47], s[0:1], v97, s0, v[0:1]
	global_load_dwordx4 v[0:3], v[46:47], off offset:16
	global_load_dwordx4 v[8:11], v[46:47], off offset:32
	;; [unrolled: 1-line block ×5, first 2 shown]
	s_mov_b32 s16, 0xbf0a6770
	s_mov_b32 s0, 0x3f575c64
	;; [unrolled: 1-line block ×10, first 2 shown]
	v_lshrrev_b32_e32 v134, 2, v76
	s_waitcnt lgkmcnt(0)
	s_barrier
	s_waitcnt vmcnt(4)
	v_pk_mul_f32 v[46:47], v[24:25], v[2:3] op_sel:[1,0]
	s_waitcnt vmcnt(3)
	v_pk_mul_f32 v[48:49], v[26:27], v[8:9] op_sel:[1,0]
	v_pk_mul_f32 v[50:51], v[28:29], v[10:11] op_sel:[1,0]
	s_waitcnt vmcnt(2)
	v_pk_mul_f32 v[56:57], v[30:31], v[4:5] op_sel:[1,0]
	;; [unrolled: 3-line block ×4, first 2 shown]
	v_pk_mul_f32 v[66:67], v[42:43], v[18:19] op_sel_hi:[0,1]
	v_pk_mul_f32 v[68:69], v[22:23], v[0:1] op_sel:[1,0]
	v_pk_fma_f32 v[42:43], v[24:25], v[2:3], v[46:47] op_sel:[0,0,1] op_sel_hi:[1,1,0] neg_lo:[0,0,1] neg_hi:[0,0,1]
	v_pk_fma_f32 v[24:25], v[24:25], v[2:3], v[46:47] op_sel:[0,0,1] op_sel_hi:[0,1,0]
	v_pk_fma_f32 v[46:47], v[26:27], v[8:9], v[48:49] op_sel:[0,0,1] op_sel_hi:[1,1,0] neg_lo:[0,0,1] neg_hi:[0,0,1]
	v_pk_fma_f32 v[26:27], v[26:27], v[8:9], v[48:49] op_sel:[0,0,1] op_sel_hi:[0,1,0]
	;; [unrolled: 2-line block ×10, first 2 shown]
	v_mov_b32_e32 v41, v23
	v_mov_b32_e32 v39, v67
	;; [unrolled: 1-line block ×6, first 2 shown]
	v_pk_add_f32 v[106:107], v[40:41], v[38:39] neg_lo:[0,1] neg_hi:[0,1]
	v_mov_b32_e32 v47, v27
	v_mov_b32_e32 v51, v31
	v_mov_b32_e32 v57, v59
	v_mov_b32_e32 v35, v63
	v_pk_add_f32 v[30:31], v[40:41], v[38:39]
	v_pk_add_f32 v[108:109], v[42:43], v[36:37] neg_lo:[0,1] neg_hi:[0,1]
	v_pk_add_f32 v[112:113], v[48:49], v[32:33] neg_lo:[0,1] neg_hi:[0,1]
	v_pk_mul_f32 v[58:59], v[106:107], s[16:17] op_sel:[1,0] op_sel_hi:[0,0]
	v_pk_add_f32 v[28:29], v[42:43], v[36:37]
	v_pk_add_f32 v[110:111], v[46:47], v[34:35] neg_lo:[0,1] neg_hi:[0,1]
	v_pk_add_f32 v[24:25], v[48:49], v[32:33]
	v_pk_mul_f32 v[60:61], v[108:109], s[30:31] op_sel:[1,0] op_sel_hi:[0,0]
	v_pk_mul_f32 v[68:69], v[112:113], s[22:23] op_sel:[1,0] op_sel_hi:[0,0]
	v_pk_fma_f32 v[100:101], v[30:31], s[0:1], v[58:59] op_sel_hi:[1,0,1]
	v_pk_fma_f32 v[102:103], v[30:31], s[0:1], v[58:59] op_sel_hi:[1,0,1] neg_lo:[0,0,1] neg_hi:[0,0,1]
	v_pk_add_f32 v[26:27], v[46:47], v[34:35]
	v_pk_mul_f32 v[64:65], v[110:111], s[20:21] op_sel:[1,0] op_sel_hi:[0,0]
	v_pk_fma_f32 v[66:67], v[28:29], s[12:13], v[60:61] op_sel_hi:[1,0,1]
	v_pk_fma_f32 v[70:71], v[28:29], s[12:13], v[60:61] op_sel_hi:[1,0,1] neg_lo:[0,0,1] neg_hi:[0,0,1]
	v_pk_fma_f32 v[58:59], v[24:25], s[18:19], v[68:69] op_sel_hi:[1,0,1]
	v_pk_fma_f32 v[60:61], v[24:25], s[18:19], v[68:69] op_sel_hi:[1,0,1] neg_lo:[0,0,1] neg_hi:[0,0,1]
	v_mov_b32_e32 v68, v100
	v_mov_b32_e32 v69, v103
	v_pk_fma_f32 v[62:63], v[26:27], s[14:15], v[64:65] op_sel_hi:[1,0,1]
	v_pk_fma_f32 v[64:65], v[26:27], s[14:15], v[64:65] op_sel_hi:[1,0,1] neg_lo:[0,0,1] neg_hi:[0,0,1]
	v_mov_b32_e32 v98, v66
	v_mov_b32_e32 v99, v71
	v_pk_add_f32 v[68:69], v[20:21], v[68:69]
	v_mov_b32_e32 v104, v62
	v_mov_b32_e32 v105, v65
	v_pk_add_f32 v[68:69], v[98:99], v[68:69]
	v_pk_add_f32 v[116:117], v[50:51], v[56:57] neg_lo:[0,1] neg_hi:[0,1]
	v_pk_add_f32 v[22:23], v[50:51], v[56:57]
	v_mov_b32_e32 v114, v58
	v_mov_b32_e32 v115, v61
	v_pk_add_f32 v[68:69], v[104:105], v[68:69]
	v_pk_mul_f32 v[98:99], v[116:117], s[28:29] op_sel:[1,0] op_sel_hi:[0,0]
	v_pk_add_f32 v[68:69], v[114:115], v[68:69]
	v_pk_fma_f32 v[104:105], v[22:23], s[24:25], v[98:99] op_sel_hi:[1,0,1]
	v_pk_fma_f32 v[114:115], v[22:23], s[24:25], v[98:99] op_sel_hi:[1,0,1] neg_lo:[0,0,1] neg_hi:[0,0,1]
	v_mov_b32_e32 v98, v104
	v_mov_b32_e32 v99, v115
	v_pk_add_f32 v[98:99], v[98:99], v[68:69]
	v_lshlrev_b32_e32 v66, 3, v45
	v_lshlrev_b32_e32 v62, 3, v54
	;; [unrolled: 1-line block ×3, first 2 shown]
	v_mov_b32_e32 v68, v52
	v_mov_b32_e32 v69, v52
	;; [unrolled: 1-line block ×4, first 2 shown]
	s_and_saveexec_b64 s[26:27], vcc
	s_cbranch_execz .LBB0_5
; %bb.4:
	v_pk_add_f32 v[40:41], v[20:21], v[40:41]
	v_mov_b32_e32 v103, v101
	v_pk_add_f32 v[40:41], v[40:41], v[42:43]
	v_mov_b32_e32 v71, v67
	;; [unrolled: 2-line block ×3, first 2 shown]
	v_pk_add_f32 v[40:41], v[40:41], v[48:49]
	v_mul_u32_u24_e32 v45, 44, v134
	v_pk_add_f32 v[40:41], v[40:41], v[50:51]
	v_mov_b32_e32 v61, v59
	v_pk_add_f32 v[40:41], v[40:41], v[56:57]
	v_or_b32_e32 v45, v45, v97
	v_pk_add_f32 v[32:33], v[40:41], v[32:33]
	v_mov_b32_e32 v115, v105
	v_pk_add_f32 v[32:33], v[32:33], v[34:35]
	v_pk_add_f32 v[34:35], v[20:21], v[102:103]
	;; [unrolled: 1-line block ×4, first 2 shown]
	v_mov_b32_e32 v128, v107
	v_pk_add_f32 v[34:35], v[64:65], v[34:35]
	v_mov_b32_e32 v129, v106
	v_pk_add_f32 v[34:35], v[60:61], v[34:35]
	v_lshlrev_b32_e32 v45, 3, v45
	v_pk_add_f32 v[32:33], v[32:33], v[38:39]
	v_pk_add_f32 v[34:35], v[114:115], v[34:35]
	v_mov_b32_e32 v106, v109
	v_mov_b32_e32 v107, v108
	ds_write2_b64 v45, v[32:33], v[34:35] offset1:4
	v_pk_mul_f32 v[32:33], v[128:129], s[30:31] op_sel_hi:[1,0]
	v_pk_mul_f32 v[38:39], v[106:107], s[22:23] op_sel_hi:[1,0]
	v_pk_fma_f32 v[34:35], v[30:31], s[12:13], v[32:33] op_sel_hi:[1,0,1] neg_lo:[0,0,1] neg_hi:[0,0,1]
	v_pk_fma_f32 v[32:33], v[30:31], s[12:13], v[32:33] op_sel_hi:[1,0,1]
	v_mov_b32_e32 v36, v34
	v_mov_b32_e32 v37, v33
	v_pk_fma_f32 v[40:41], v[28:29], s[18:19], v[38:39] op_sel_hi:[1,0,1] neg_lo:[0,0,1] neg_hi:[0,0,1]
	v_pk_fma_f32 v[38:39], v[28:29], s[18:19], v[38:39] op_sel_hi:[1,0,1]
	v_mov_b32_e32 v108, v111
	v_mov_b32_e32 v109, v110
	v_pk_add_f32 v[36:37], v[20:21], v[36:37]
	v_mov_b32_e32 v42, v40
	v_mov_b32_e32 v43, v39
	s_mov_b32 s30, 0x3e903f40
	v_pk_add_f32 v[36:37], v[42:43], v[36:37]
	v_pk_mul_f32 v[42:43], v[108:109], s[30:31] op_sel_hi:[1,0]
	v_mov_b32_e32 v110, v113
	v_pk_fma_f32 v[46:47], v[26:27], s[24:25], v[42:43] op_sel_hi:[1,0,1] neg_lo:[0,0,1] neg_hi:[0,0,1]
	v_pk_fma_f32 v[42:43], v[26:27], s[24:25], v[42:43] op_sel_hi:[1,0,1]
	v_mov_b32_e32 v111, v112
	v_mov_b32_e32 v48, v46
	v_mov_b32_e32 v49, v43
	s_mov_b32 s34, 0x3f7d64f0
	v_pk_add_f32 v[36:37], v[48:49], v[36:37]
	v_pk_mul_f32 v[48:49], v[110:111], s[34:35] op_sel_hi:[1,0]
	v_mov_b32_e32 v112, v117
	v_pk_fma_f32 v[50:51], v[24:25], s[14:15], v[48:49] op_sel_hi:[1,0,1] neg_lo:[0,0,1] neg_hi:[0,0,1]
	v_pk_fma_f32 v[48:49], v[24:25], s[14:15], v[48:49] op_sel_hi:[1,0,1]
	v_mov_b32_e32 v113, v116
	v_mov_b32_e32 v56, v50
	v_mov_b32_e32 v57, v49
	s_mov_b32 s36, 0x3f0a6770
	v_pk_add_f32 v[36:37], v[56:57], v[36:37]
	v_pk_mul_f32 v[56:57], v[112:113], s[36:37] op_sel_hi:[1,0]
	v_pk_mul_f32 v[70:71], v[106:107], s[30:31] op_sel_hi:[1,0]
	v_pk_fma_f32 v[60:61], v[22:23], s[0:1], v[56:57] op_sel_hi:[1,0,1] neg_lo:[0,0,1] neg_hi:[0,0,1]
	v_pk_fma_f32 v[56:57], v[22:23], s[0:1], v[56:57] op_sel_hi:[1,0,1]
	v_mov_b32_e32 v64, v60
	v_mov_b32_e32 v65, v57
	v_pk_add_f32 v[36:37], v[64:65], v[36:37]
	v_pk_mul_f32 v[64:65], v[128:129], s[20:21] op_sel_hi:[1,0]
	s_mov_b32 s30, 0x3f68dda4
	v_pk_fma_f32 v[114:115], v[30:31], s[14:15], v[64:65] op_sel_hi:[1,0,1] neg_lo:[0,0,1] neg_hi:[0,0,1]
	v_pk_fma_f32 v[64:65], v[30:31], s[14:15], v[64:65] op_sel_hi:[1,0,1]
	v_mov_b32_e32 v116, v114
	v_mov_b32_e32 v117, v65
	v_pk_fma_f32 v[130:131], v[28:29], s[24:25], v[70:71] op_sel_hi:[1,0,1] neg_lo:[0,0,1] neg_hi:[0,0,1]
	v_pk_fma_f32 v[70:71], v[28:29], s[24:25], v[70:71] op_sel_hi:[1,0,1]
	v_pk_mul_f32 v[100:101], v[108:109], s[30:31] op_sel_hi:[1,0]
	v_pk_add_f32 v[116:117], v[20:21], v[116:117]
	v_mov_b32_e32 v132, v130
	v_mov_b32_e32 v133, v71
	v_pk_add_f32 v[116:117], v[132:133], v[116:117]
	v_pk_fma_f32 v[132:133], v[26:27], s[12:13], v[100:101] op_sel_hi:[1,0,1] neg_lo:[0,0,1] neg_hi:[0,0,1]
	v_pk_fma_f32 v[100:101], v[26:27], s[12:13], v[100:101] op_sel_hi:[1,0,1]
	v_pk_mul_f32 v[102:103], v[110:111], s[16:17] op_sel_hi:[1,0]
	v_mov_b32_e32 v136, v132
	v_mov_b32_e32 v137, v101
	v_pk_add_f32 v[116:117], v[136:137], v[116:117]
	v_pk_fma_f32 v[136:137], v[24:25], s[0:1], v[102:103] op_sel_hi:[1,0,1] neg_lo:[0,0,1] neg_hi:[0,0,1]
	v_pk_fma_f32 v[102:103], v[24:25], s[0:1], v[102:103] op_sel_hi:[1,0,1]
	v_pk_mul_f32 v[104:105], v[112:113], s[22:23] op_sel_hi:[1,0]
	v_mov_b32_e32 v138, v136
	v_mov_b32_e32 v139, v103
	v_pk_add_f32 v[116:117], v[138:139], v[116:117]
	v_pk_fma_f32 v[138:139], v[22:23], s[18:19], v[104:105] op_sel_hi:[1,0,1] neg_lo:[0,0,1] neg_hi:[0,0,1]
	v_pk_fma_f32 v[104:105], v[22:23], s[18:19], v[104:105] op_sel_hi:[1,0,1]
	v_mov_b32_e32 v140, v138
	v_mov_b32_e32 v141, v105
	v_pk_add_f32 v[116:117], v[140:141], v[116:117]
	ds_write2_b64 v45, v[36:37], v[116:117] offset0:8 offset1:12
	v_pk_mul_f32 v[36:37], v[128:129], s[22:23] op_sel_hi:[1,0]
	v_pk_mul_f32 v[142:143], v[106:107], s[34:35] op_sel_hi:[1,0]
	v_pk_fma_f32 v[116:117], v[30:31], s[18:19], v[36:37] op_sel_hi:[1,0,1] neg_lo:[0,0,1] neg_hi:[0,0,1]
	v_pk_fma_f32 v[36:37], v[30:31], s[18:19], v[36:37] op_sel_hi:[1,0,1]
	v_mov_b32_e32 v140, v116
	v_mov_b32_e32 v141, v37
	v_pk_fma_f32 v[144:145], v[28:29], s[14:15], v[142:143] op_sel_hi:[1,0,1] neg_lo:[0,0,1] neg_hi:[0,0,1]
	v_pk_fma_f32 v[142:143], v[28:29], s[14:15], v[142:143] op_sel_hi:[1,0,1]
	v_pk_add_f32 v[140:141], v[20:21], v[140:141]
	v_mov_b32_e32 v146, v144
	v_mov_b32_e32 v147, v143
	v_pk_add_f32 v[140:141], v[146:147], v[140:141]
	v_pk_mul_f32 v[146:147], v[108:109], s[16:17] op_sel_hi:[1,0]
	v_pk_mul_f32 v[128:129], v[128:129], s[28:29] op_sel_hi:[1,0]
	v_pk_fma_f32 v[148:149], v[26:27], s[0:1], v[146:147] op_sel_hi:[1,0,1] neg_lo:[0,0,1] neg_hi:[0,0,1]
	v_pk_fma_f32 v[146:147], v[26:27], s[0:1], v[146:147] op_sel_hi:[1,0,1]
	v_mov_b32_e32 v150, v148
	v_mov_b32_e32 v151, v147
	v_pk_add_f32 v[140:141], v[150:151], v[140:141]
	v_pk_mul_f32 v[150:151], v[110:111], s[28:29] op_sel_hi:[1,0]
	v_pk_mul_f32 v[106:107], v[106:107], s[36:37] op_sel_hi:[1,0]
	v_pk_fma_f32 v[152:153], v[24:25], s[24:25], v[150:151] op_sel_hi:[1,0,1] neg_lo:[0,0,1] neg_hi:[0,0,1]
	v_pk_fma_f32 v[150:151], v[24:25], s[24:25], v[150:151] op_sel_hi:[1,0,1]
	v_mov_b32_e32 v154, v152
	v_mov_b32_e32 v155, v151
	v_pk_add_f32 v[140:141], v[154:155], v[140:141]
	v_pk_mul_f32 v[154:155], v[112:113], s[30:31] op_sel_hi:[1,0]
	v_pk_fma_f32 v[160:161], v[28:29], s[0:1], v[106:107] op_sel_hi:[1,0,1] neg_lo:[0,0,1] neg_hi:[0,0,1]
	v_pk_fma_f32 v[156:157], v[22:23], s[12:13], v[154:155] op_sel_hi:[1,0,1] neg_lo:[0,0,1] neg_hi:[0,0,1]
	v_pk_fma_f32 v[154:155], v[22:23], s[12:13], v[154:155] op_sel_hi:[1,0,1]
	v_mov_b32_e32 v158, v156
	v_mov_b32_e32 v159, v155
	v_pk_add_f32 v[140:141], v[158:159], v[140:141]
	v_pk_fma_f32 v[158:159], v[30:31], s[24:25], v[128:129] op_sel_hi:[1,0,1] neg_lo:[0,0,1] neg_hi:[0,0,1]
	v_pk_fma_f32 v[30:31], v[30:31], s[24:25], v[128:129] op_sel_hi:[1,0,1]
	v_mov_b32_e32 v128, v158
	v_mov_b32_e32 v129, v31
	v_pk_fma_f32 v[28:29], v[28:29], s[0:1], v[106:107] op_sel_hi:[1,0,1]
	v_pk_mul_f32 v[108:109], v[108:109], s[22:23] op_sel_hi:[1,0]
	v_pk_add_f32 v[128:129], v[20:21], v[128:129]
	v_mov_b32_e32 v106, v160
	v_mov_b32_e32 v107, v29
	v_pk_add_f32 v[106:107], v[106:107], v[128:129]
	v_pk_fma_f32 v[128:129], v[26:27], s[18:19], v[108:109] op_sel_hi:[1,0,1] neg_lo:[0,0,1] neg_hi:[0,0,1]
	v_pk_fma_f32 v[26:27], v[26:27], s[18:19], v[108:109] op_sel_hi:[1,0,1]
	v_pk_mul_f32 v[110:111], v[110:111], s[30:31] op_sel_hi:[1,0]
	v_mov_b32_e32 v108, v128
	v_mov_b32_e32 v109, v27
	;; [unrolled: 1-line block ×3, first 2 shown]
	v_pk_add_f32 v[106:107], v[108:109], v[106:107]
	v_pk_fma_f32 v[108:109], v[24:25], s[12:13], v[110:111] op_sel_hi:[1,0,1] neg_lo:[0,0,1] neg_hi:[0,0,1]
	v_pk_fma_f32 v[24:25], v[24:25], s[12:13], v[110:111] op_sel_hi:[1,0,1]
	v_pk_add_f32 v[30:31], v[20:21], v[30:31]
	v_mov_b32_e32 v29, v161
	v_pk_mul_f32 v[112:113], v[112:113], s[20:21] op_sel_hi:[1,0]
	v_mov_b32_e32 v110, v108
	v_mov_b32_e32 v111, v25
	v_pk_add_f32 v[28:29], v[28:29], v[30:31]
	v_mov_b32_e32 v27, v129
	v_pk_add_f32 v[106:107], v[110:111], v[106:107]
	v_pk_fma_f32 v[110:111], v[22:23], s[14:15], v[112:113] op_sel_hi:[1,0,1] neg_lo:[0,0,1] neg_hi:[0,0,1]
	v_pk_fma_f32 v[22:23], v[22:23], s[14:15], v[112:113] op_sel_hi:[1,0,1]
	v_pk_add_f32 v[26:27], v[26:27], v[28:29]
	v_mov_b32_e32 v25, v109
	v_mov_b32_e32 v113, v23
	v_pk_add_f32 v[24:25], v[24:25], v[26:27]
	v_mov_b32_e32 v23, v111
	v_mov_b32_e32 v37, v117
	v_pk_add_f32 v[22:23], v[22:23], v[24:25]
	v_pk_add_f32 v[24:25], v[20:21], v[36:37]
	v_mov_b32_e32 v143, v145
	v_pk_add_f32 v[24:25], v[142:143], v[24:25]
	v_mov_b32_e32 v147, v149
	;; [unrolled: 2-line block ×5, first 2 shown]
	v_mov_b32_e32 v33, v35
	ds_write2_b64 v45, v[22:23], v[24:25] offset0:24 offset1:28
	v_pk_add_f32 v[22:23], v[20:21], v[64:65]
	v_mov_b32_e32 v71, v131
	v_pk_add_f32 v[20:21], v[20:21], v[32:33]
	v_mov_b32_e32 v39, v41
	;; [unrolled: 2-line block ×6, first 2 shown]
	v_mov_b32_e32 v112, v110
	v_pk_add_f32 v[22:23], v[102:103], v[22:23]
	v_mov_b32_e32 v105, v139
	v_pk_add_f32 v[20:21], v[48:49], v[20:21]
	;; [unrolled: 2-line block ×3, first 2 shown]
	v_pk_add_f32 v[22:23], v[104:105], v[22:23]
	v_pk_add_f32 v[20:21], v[56:57], v[20:21]
	ds_write2_b64 v45, v[140:141], v[106:107] offset0:16 offset1:20
	ds_write2_b64 v45, v[22:23], v[20:21] offset0:32 offset1:36
	ds_write_b64 v45, v[98:99] offset:320
.LBB0_5:
	s_or_b64 exec, exec, s[26:27]
	s_movk_i32 s0, 0xbb
	v_mul_lo_u16_sdwa v20, v76, s0 dst_sel:DWORD dst_unused:UNUSED_PAD src0_sel:BYTE_0 src1_sel:DWORD
	v_lshrrev_b16_e32 v45, 13, v20
	v_mul_lo_u16_e32 v20, 44, v45
	v_sub_u16_e32 v20, v76, v20
	v_and_b32_e32 v50, 0xff, v20
	v_lshlrev_b32_e32 v28, 5, v50
	s_waitcnt lgkmcnt(0)
	s_barrier
	global_load_dwordx4 v[20:23], v28, s[10:11] offset:352
	global_load_dwordx4 v[24:27], v28, s[10:11] offset:336
	v_mul_lo_u16_sdwa v28, v44, s0 dst_sel:DWORD dst_unused:UNUSED_PAD src0_sel:BYTE_0 src1_sel:DWORD
	v_lshrrev_b16_e32 v51, 13, v28
	v_mul_lo_u16_e32 v28, 44, v51
	v_sub_u16_e32 v28, v44, v28
	v_and_b32_e32 v54, 0xff, v28
	v_lshlrev_b32_e32 v36, 5, v54
	global_load_dwordx4 v[28:31], v36, s[10:11] offset:352
	global_load_dwordx4 v[32:35], v36, s[10:11] offset:336
	v_add_u32_e32 v103, 0x400, v96
	ds_read2_b64 v[36:39], v96 offset1:110
	v_add_u32_e32 v57, 0xc00, v96
	v_add_u32_e32 v56, 0x1400, v96
	;; [unrolled: 1-line block ×3, first 2 shown]
	ds_read2_b64 v[40:43], v103 offset0:92 offset1:202
	ds_read2_b64 v[46:49], v57 offset0:56 offset1:166
	;; [unrolled: 1-line block ×4, first 2 shown]
	v_mul_u32_u24_e32 v45, 0xdc, v45
	v_mul_u32_u24_e32 v51, 0xdc, v51
	v_add_lshl_u32 v133, v45, v50, 3
	v_add_lshl_u32 v132, v51, v54, 3
	s_mov_b32 s12, 0x3f737871
	s_mov_b32 s14, 0x3f167918
	s_mov_b32 s0, 0x3e9e377a
	s_waitcnt lgkmcnt(0)
	s_barrier
	v_lshlrev_b32_e32 v54, 3, v76
	v_lshl_add_u64 v[54:55], s[8:9], 0, v[54:55]
	s_waitcnt vmcnt(3)
	v_mov_b32_e32 v100, v23
	s_waitcnt vmcnt(2)
	v_mov_b32_e32 v102, v27
	v_pk_mul_f32 v[64:65], v[40:41], v[24:25] op_sel:[0,1]
	v_pk_mul_f32 v[70:71], v[112:113], v[20:21] op_sel:[0,1]
	v_pk_fma_f32 v[116:117], v[40:41], v[24:25], v[64:65] op_sel:[0,0,1] op_sel_hi:[1,1,0] neg_lo:[0,0,1] neg_hi:[0,0,1]
	v_pk_fma_f32 v[40:41], v[40:41], v[24:25], v[64:65] op_sel:[0,0,1] op_sel_hi:[1,0,0]
	v_pk_mul_f32 v[64:65], v[46:47], v[102:103] op_sel_hi:[1,0]
	s_waitcnt vmcnt(1)
	v_mov_b32_e32 v106, v31
	s_waitcnt vmcnt(0)
	v_mov_b32_e32 v110, v35
	v_pk_mul_f32 v[50:51], v[42:43], v[32:33] op_sel:[0,1]
	v_pk_mul_f32 v[60:61], v[114:115], v[28:29] op_sel:[0,1]
	v_pk_fma_f32 v[136:137], v[112:113], v[20:21], v[70:71] op_sel:[0,0,1] op_sel_hi:[1,1,0] neg_lo:[0,0,1] neg_hi:[0,0,1]
	v_pk_fma_f32 v[70:71], v[112:113], v[20:21], v[70:71] op_sel:[0,0,1] op_sel_hi:[1,0,0]
	v_pk_mul_f32 v[112:113], v[128:129], v[100:101] op_sel_hi:[1,0]
	v_pk_fma_f32 v[104:105], v[42:43], v[32:33], v[50:51] op_sel:[0,0,1] op_sel_hi:[1,1,0] neg_lo:[0,0,1] neg_hi:[0,0,1]
	v_pk_fma_f32 v[42:43], v[42:43], v[32:33], v[50:51] op_sel:[0,0,1] op_sel_hi:[1,0,0]
	v_pk_mul_f32 v[50:51], v[48:49], v[110:111] op_sel_hi:[1,0]
	;; [unrolled: 3-line block ×3, first 2 shown]
	v_mov_b32_e32 v117, v41
	v_pk_fma_f32 v[40:41], v[46:47], v[26:27], v[64:65] op_sel:[0,0,1] op_sel_hi:[1,1,0] neg_lo:[0,0,1] neg_hi:[0,0,1]
	v_pk_fma_f32 v[46:47], v[46:47], v[26:27], v[64:65] op_sel:[0,0,1] op_sel_hi:[1,0,0]
	v_mov_b32_e32 v137, v71
	v_pk_fma_f32 v[64:65], v[128:129], v[22:23], v[112:113] op_sel:[0,0,1] op_sel_hi:[1,1,0] neg_lo:[0,0,1] neg_hi:[0,0,1]
	v_pk_fma_f32 v[70:71], v[128:129], v[22:23], v[112:113] op_sel:[0,0,1] op_sel_hi:[1,0,0]
	;; [unrolled: 3-line block ×4, first 2 shown]
	v_mov_b32_e32 v41, v47
	v_mov_b32_e32 v65, v71
	;; [unrolled: 1-line block ×3, first 2 shown]
	v_pk_add_f32 v[60:61], v[40:41], v[136:137]
	v_pk_add_f32 v[70:71], v[116:117], v[64:65] neg_lo:[0,1] neg_hi:[0,1]
	v_pk_add_f32 v[112:113], v[40:41], v[136:137] neg_lo:[0,1] neg_hi:[0,1]
	;; [unrolled: 1-line block ×4, first 2 shown]
	v_pk_fma_f32 v[60:61], v[60:61], 0.5, v[36:37] op_sel_hi:[1,0,1] neg_lo:[1,0,0] neg_hi:[1,0,0]
	v_pk_mul_f32 v[130:131], v[70:71], s[12:13] op_sel_hi:[1,0]
	v_pk_add_f32 v[46:47], v[36:37], v[116:117]
	v_pk_mul_f32 v[138:139], v[112:113], s[14:15] op_sel_hi:[1,0]
	v_pk_add_f32 v[114:115], v[114:115], v[128:129]
	v_pk_add_f32 v[128:129], v[60:61], v[130:131] op_sel:[0,1] op_sel_hi:[1,0]
	v_pk_add_f32 v[60:61], v[60:61], v[130:131] op_sel:[0,1] op_sel_hi:[1,0] neg_lo:[0,1] neg_hi:[0,1]
	v_pk_add_f32 v[46:47], v[46:47], v[40:41]
	v_pk_add_f32 v[60:61], v[60:61], v[138:139] op_sel:[0,1] op_sel_hi:[1,0] neg_lo:[0,1] neg_hi:[0,1]
	v_pk_add_f32 v[128:129], v[128:129], v[138:139] op_sel:[0,1] op_sel_hi:[1,0]
	v_pk_add_f32 v[46:47], v[46:47], v[136:137]
	v_mov_b32_e32 v130, v128
	v_mov_b32_e32 v131, v61
	v_pk_add_f32 v[46:47], v[46:47], v[64:65]
	v_pk_fma_f32 v[130:131], v[114:115], s[0:1], v[130:131] op_sel_hi:[1,0,1]
	ds_write2_b64 v133, v[46:47], v[130:131] offset1:44
	v_pk_add_f32 v[46:47], v[116:117], v[64:65]
	v_pk_add_f32 v[40:41], v[40:41], v[116:117] neg_lo:[0,1] neg_hi:[0,1]
	v_pk_fma_f32 v[36:37], v[46:47], 0.5, v[36:37] op_sel_hi:[1,0,1] neg_lo:[1,0,0] neg_hi:[1,0,0]
	v_pk_add_f32 v[46:47], v[136:137], v[64:65] neg_lo:[0,1] neg_hi:[0,1]
	v_pk_mul_f32 v[64:65], v[70:71], s[14:15] op_sel_hi:[1,0]
	v_pk_add_f32 v[40:41], v[40:41], v[46:47]
	v_pk_mul_f32 v[46:47], v[112:113], s[12:13] op_sel_hi:[1,0]
	v_mov_b32_e32 v61, v129
	v_pk_add_f32 v[70:71], v[36:37], v[46:47] op_sel:[0,1] op_sel_hi:[1,0] neg_lo:[0,1] neg_hi:[0,1]
	v_pk_add_f32 v[36:37], v[36:37], v[46:47] op_sel:[0,1] op_sel_hi:[1,0]
	v_pk_add_f32 v[46:47], v[70:71], v[64:65] op_sel:[0,1] op_sel_hi:[1,0]
	v_pk_add_f32 v[36:37], v[36:37], v[64:65] op_sel:[0,1] op_sel_hi:[1,0] neg_lo:[0,1] neg_hi:[0,1]
	v_mov_b32_e32 v64, v46
	v_mov_b32_e32 v65, v37
	;; [unrolled: 1-line block ×3, first 2 shown]
	v_pk_fma_f32 v[64:65], v[40:41], s[0:1], v[64:65] op_sel_hi:[1,0,1]
	v_pk_fma_f32 v[36:37], v[40:41], s[0:1], v[36:37] op_sel_hi:[1,0,1]
	v_mov_b32_e32 v43, v49
	ds_write2_b64 v133, v[64:65], v[36:37] offset0:88 offset1:132
	v_pk_fma_f32 v[36:37], v[114:115], s[0:1], v[60:61] op_sel_hi:[1,0,1]
	ds_write_b64 v133, v[36:37] offset:1408
	v_pk_add_f32 v[36:37], v[42:43], v[108:109]
	v_pk_add_f32 v[40:41], v[104:105], v[50:51] neg_lo:[0,1] neg_hi:[0,1]
	v_pk_fma_f32 v[36:37], v[36:37], 0.5, v[38:39] op_sel_hi:[1,0,1] neg_lo:[1,0,0] neg_hi:[1,0,0]
	v_pk_mul_f32 v[46:47], v[40:41], s[12:13] op_sel_hi:[1,0]
	v_pk_add_f32 v[60:61], v[42:43], v[108:109] neg_lo:[0,1] neg_hi:[0,1]
	v_pk_add_f32 v[70:71], v[104:105], v[42:43] neg_lo:[0,1] neg_hi:[0,1]
	v_pk_add_f32 v[112:113], v[50:51], v[108:109] neg_lo:[0,1] neg_hi:[0,1]
	v_pk_add_f32 v[48:49], v[38:39], v[104:105]
	v_pk_mul_f32 v[64:65], v[60:61], s[14:15] op_sel_hi:[1,0]
	v_pk_add_f32 v[70:71], v[70:71], v[112:113]
	v_pk_add_f32 v[112:113], v[36:37], v[46:47] op_sel:[0,1] op_sel_hi:[1,0]
	v_pk_add_f32 v[36:37], v[36:37], v[46:47] op_sel:[0,1] op_sel_hi:[1,0] neg_lo:[0,1] neg_hi:[0,1]
	v_pk_add_f32 v[48:49], v[48:49], v[42:43]
	v_pk_add_f32 v[36:37], v[36:37], v[64:65] op_sel:[0,1] op_sel_hi:[1,0] neg_lo:[0,1] neg_hi:[0,1]
	v_pk_add_f32 v[46:47], v[112:113], v[64:65] op_sel:[0,1] op_sel_hi:[1,0]
	v_pk_add_f32 v[48:49], v[48:49], v[108:109]
	v_mov_b32_e32 v64, v46
	v_mov_b32_e32 v65, v37
	v_pk_add_f32 v[48:49], v[48:49], v[50:51]
	v_pk_fma_f32 v[64:65], v[70:71], s[0:1], v[64:65] op_sel_hi:[1,0,1]
	ds_write2_b64 v132, v[48:49], v[64:65] offset1:44
	v_pk_add_f32 v[48:49], v[104:105], v[50:51]
	v_pk_add_f32 v[42:43], v[42:43], v[104:105] neg_lo:[0,1] neg_hi:[0,1]
	v_pk_fma_f32 v[38:39], v[48:49], 0.5, v[38:39] op_sel_hi:[1,0,1] neg_lo:[1,0,0] neg_hi:[1,0,0]
	v_pk_add_f32 v[48:49], v[108:109], v[50:51] neg_lo:[0,1] neg_hi:[0,1]
	v_pk_mul_f32 v[40:41], v[40:41], s[14:15] op_sel_hi:[1,0]
	v_pk_add_f32 v[42:43], v[42:43], v[48:49]
	v_pk_mul_f32 v[48:49], v[60:61], s[12:13] op_sel_hi:[1,0]
	v_mov_b32_e32 v37, v47
	v_pk_add_f32 v[50:51], v[38:39], v[48:49] op_sel:[0,1] op_sel_hi:[1,0] neg_lo:[0,1] neg_hi:[0,1]
	v_pk_add_f32 v[38:39], v[38:39], v[48:49] op_sel:[0,1] op_sel_hi:[1,0]
	v_pk_fma_f32 v[36:37], v[70:71], s[0:1], v[36:37] op_sel_hi:[1,0,1]
	v_pk_add_f32 v[38:39], v[38:39], v[40:41] op_sel:[0,1] op_sel_hi:[1,0] neg_lo:[0,1] neg_hi:[0,1]
	v_pk_add_f32 v[40:41], v[50:51], v[40:41] op_sel:[0,1] op_sel_hi:[1,0]
	v_mov_b32_e32 v49, v39
	v_mov_b32_e32 v48, v40
	;; [unrolled: 1-line block ×3, first 2 shown]
	v_pk_fma_f32 v[48:49], v[42:43], s[0:1], v[48:49] op_sel_hi:[1,0,1]
	v_pk_fma_f32 v[38:39], v[42:43], s[0:1], v[38:39] op_sel_hi:[1,0,1]
	v_lshlrev_b32_e32 v23, 5, v76
	ds_write2_b64 v132, v[48:49], v[38:39] offset0:88 offset1:132
	ds_write_b64 v132, v[36:37] offset:1408
	s_waitcnt lgkmcnt(0)
	s_barrier
	global_load_dwordx4 v[40:43], v23, s[10:11] offset:1760
	global_load_dwordx4 v[48:51], v23, s[10:11] offset:1744
	v_lshlrev_b32_e32 v23, 5, v44
	global_load_dwordx4 v[36:39], v23, s[10:11] offset:1760
	global_load_dwordx4 v[44:47], v23, s[10:11] offset:1744
	ds_read2_b64 v[128:131], v96 offset1:110
	ds_read2_b64 v[136:139], v103 offset0:92 offset1:202
	ds_read2_b64 v[140:143], v57 offset0:56 offset1:166
	;; [unrolled: 1-line block ×4, first 2 shown]
	v_mov_b32_e32 v122, v21
	v_mov_b32_e32 v124, v25
	s_waitcnt vmcnt(3)
	v_mov_b32_e32 v112, v43
	s_waitcnt vmcnt(2) lgkmcnt(3)
	v_pk_mul_f32 v[60:61], v[136:137], v[48:49] op_sel:[0,1]
	v_mov_b32_e32 v114, v51
	v_pk_fma_f32 v[64:65], v[136:137], v[48:49], v[60:61] op_sel:[0,0,1] op_sel_hi:[1,1,0] neg_lo:[0,0,1] neg_hi:[0,0,1]
	v_pk_fma_f32 v[60:61], v[136:137], v[48:49], v[60:61] op_sel:[0,0,1] op_sel_hi:[1,0,0]
	s_waitcnt vmcnt(0)
	v_mov_b32_e32 v108, v47
	v_mov_b32_e32 v65, v61
	s_waitcnt lgkmcnt(2)
	v_pk_mul_f32 v[60:61], v[140:141], v[114:115] op_sel_hi:[1,0]
	v_mov_b32_e32 v104, v39
	v_pk_fma_f32 v[70:71], v[140:141], v[50:51], v[60:61] op_sel:[0,0,1] op_sel_hi:[1,1,0] neg_lo:[0,0,1] neg_hi:[0,0,1]
	v_pk_fma_f32 v[60:61], v[140:141], v[50:51], v[60:61] op_sel:[0,0,1] op_sel_hi:[1,0,0]
	v_pk_mul_f32 v[140:141], v[138:139], v[44:45] op_sel:[0,1]
	v_mov_b32_e32 v71, v61
	s_waitcnt lgkmcnt(1)
	v_pk_mul_f32 v[60:61], v[144:145], v[40:41] op_sel:[0,1]
	v_pk_add_f32 v[158:159], v[64:65], v[70:71] neg_lo:[0,1] neg_hi:[0,1]
	v_pk_fma_f32 v[116:117], v[144:145], v[40:41], v[60:61] op_sel:[0,0,1] op_sel_hi:[1,1,0] neg_lo:[0,0,1] neg_hi:[0,0,1]
	v_pk_fma_f32 v[60:61], v[144:145], v[40:41], v[60:61] op_sel:[0,0,1] op_sel_hi:[1,0,0]
	v_pk_fma_f32 v[144:145], v[138:139], v[44:45], v[140:141] op_sel:[0,0,1] op_sel_hi:[1,1,0] neg_lo:[0,0,1] neg_hi:[0,0,1]
	v_pk_fma_f32 v[138:139], v[138:139], v[44:45], v[140:141] op_sel:[0,0,1] op_sel_hi:[1,0,0]
	v_mov_b32_e32 v117, v61
	v_mov_b32_e32 v145, v139
	v_pk_mul_f32 v[138:139], v[142:143], v[108:109] op_sel_hi:[1,0]
	s_waitcnt lgkmcnt(0)
	v_pk_mul_f32 v[60:61], v[148:149], v[112:113] op_sel_hi:[1,0]
	v_pk_fma_f32 v[140:141], v[142:143], v[46:47], v[138:139] op_sel:[0,0,1] op_sel_hi:[1,1,0] neg_lo:[0,0,1] neg_hi:[0,0,1]
	v_pk_fma_f32 v[138:139], v[142:143], v[46:47], v[138:139] op_sel:[0,0,1] op_sel_hi:[1,0,0]
	v_pk_fma_f32 v[136:137], v[148:149], v[42:43], v[60:61] op_sel:[0,0,1] op_sel_hi:[1,1,0] neg_lo:[0,0,1] neg_hi:[0,0,1]
	v_mov_b32_e32 v141, v139
	v_pk_mul_f32 v[138:139], v[146:147], v[36:37] op_sel:[0,1]
	v_pk_fma_f32 v[60:61], v[148:149], v[42:43], v[60:61] op_sel:[0,0,1] op_sel_hi:[1,0,0]
	v_pk_fma_f32 v[142:143], v[146:147], v[36:37], v[138:139] op_sel:[0,0,1] op_sel_hi:[1,1,0] neg_lo:[0,0,1] neg_hi:[0,0,1]
	v_pk_fma_f32 v[138:139], v[146:147], v[36:37], v[138:139] op_sel:[0,0,1] op_sel_hi:[1,0,0]
	v_mov_b32_e32 v137, v61
	v_mov_b32_e32 v143, v139
	v_pk_mul_f32 v[138:139], v[150:151], v[104:105] op_sel_hi:[1,0]
	v_pk_add_f32 v[148:149], v[70:71], v[116:117]
	v_pk_fma_f32 v[146:147], v[150:151], v[38:39], v[138:139] op_sel:[0,0,1] op_sel_hi:[1,1,0] neg_lo:[0,0,1] neg_hi:[0,0,1]
	v_pk_fma_f32 v[138:139], v[150:151], v[38:39], v[138:139] op_sel:[0,0,1] op_sel_hi:[1,0,0]
	v_pk_add_f32 v[150:151], v[64:65], v[136:137] neg_lo:[0,1] neg_hi:[0,1]
	v_pk_fma_f32 v[148:149], v[148:149], 0.5, v[128:129] op_sel_hi:[1,0,1] neg_lo:[1,0,0] neg_hi:[1,0,0]
	v_pk_mul_f32 v[152:153], v[150:151], s[12:13] op_sel_hi:[1,0]
	v_pk_add_f32 v[154:155], v[70:71], v[116:117] neg_lo:[0,1] neg_hi:[0,1]
	v_pk_add_f32 v[160:161], v[136:137], v[116:117] neg_lo:[0,1] neg_hi:[0,1]
	v_pk_mul_f32 v[156:157], v[154:155], s[14:15] op_sel_hi:[1,0]
	v_pk_add_f32 v[158:159], v[158:159], v[160:161]
	v_pk_add_f32 v[160:161], v[148:149], v[152:153] op_sel:[0,1] op_sel_hi:[1,0]
	v_pk_add_f32 v[148:149], v[148:149], v[152:153] op_sel:[0,1] op_sel_hi:[1,0] neg_lo:[0,1] neg_hi:[0,1]
	v_pk_add_f32 v[152:153], v[160:161], v[156:157] op_sel:[0,1] op_sel_hi:[1,0]
	v_pk_add_f32 v[148:149], v[148:149], v[156:157] op_sel:[0,1] op_sel_hi:[1,0] neg_lo:[0,1] neg_hi:[0,1]
	v_mov_b32_e32 v156, v152
	v_mov_b32_e32 v157, v149
	v_pk_add_f32 v[60:61], v[128:129], v[64:65]
	v_pk_fma_f32 v[156:157], v[158:159], s[0:1], v[156:157] op_sel_hi:[1,0,1]
	v_pk_add_f32 v[60:61], v[60:61], v[70:71]
	ds_write_b64 v96, v[156:157] offset:1760
	v_pk_add_f32 v[156:157], v[64:65], v[136:137]
	v_pk_add_f32 v[64:65], v[70:71], v[64:65] neg_lo:[0,1] neg_hi:[0,1]
	v_pk_add_f32 v[70:71], v[116:117], v[136:137] neg_lo:[0,1] neg_hi:[0,1]
	v_pk_add_f32 v[60:61], v[60:61], v[116:117]
	v_pk_fma_f32 v[128:129], v[156:157], 0.5, v[128:129] op_sel_hi:[1,0,1] neg_lo:[1,0,0] neg_hi:[1,0,0]
	v_pk_add_f32 v[64:65], v[64:65], v[70:71]
	v_pk_mul_f32 v[70:71], v[154:155], s[12:13] op_sel_hi:[1,0]
	v_pk_add_f32 v[60:61], v[60:61], v[136:137]
	v_pk_mul_f32 v[116:117], v[150:151], s[14:15] op_sel_hi:[1,0]
	v_pk_add_f32 v[136:137], v[128:129], v[70:71] op_sel:[0,1] op_sel_hi:[1,0] neg_lo:[0,1] neg_hi:[0,1]
	v_pk_add_f32 v[70:71], v[128:129], v[70:71] op_sel:[0,1] op_sel_hi:[1,0]
	v_mov_b32_e32 v147, v139
	v_pk_add_f32 v[70:71], v[70:71], v[116:117] op_sel:[0,1] op_sel_hi:[1,0] neg_lo:[0,1] neg_hi:[0,1]
	v_pk_add_f32 v[116:117], v[136:137], v[116:117] op_sel:[0,1] op_sel_hi:[1,0]
	v_pk_add_f32 v[138:139], v[130:131], v[144:145]
	v_mov_b32_e32 v128, v116
	v_mov_b32_e32 v129, v71
	;; [unrolled: 1-line block ×3, first 2 shown]
	v_pk_add_f32 v[138:139], v[138:139], v[140:141]
	v_pk_fma_f32 v[128:129], v[64:65], s[0:1], v[128:129] op_sel_hi:[1,0,1]
	v_pk_fma_f32 v[64:65], v[64:65], s[0:1], v[70:71] op_sel_hi:[1,0,1]
	v_mov_b32_e32 v149, v153
	v_pk_add_f32 v[138:139], v[138:139], v[142:143]
	ds_write_b64 v96, v[64:65] offset:5280
	v_pk_fma_f32 v[64:65], v[158:159], s[0:1], v[148:149] op_sel_hi:[1,0,1]
	v_pk_add_f32 v[138:139], v[138:139], v[146:147]
	ds_write_b64 v96, v[128:129] offset:3520
	ds_write_b64 v96, v[64:65] offset:7040
	ds_write2_b64 v96, v[60:61], v[138:139] offset1:110
	v_pk_add_f32 v[60:61], v[140:141], v[142:143]
	v_pk_add_f32 v[64:65], v[144:145], v[146:147] neg_lo:[0,1] neg_hi:[0,1]
	v_pk_fma_f32 v[60:61], v[60:61], 0.5, v[130:131] op_sel_hi:[1,0,1] neg_lo:[1,0,0] neg_hi:[1,0,0]
	v_pk_mul_f32 v[70:71], v[64:65], s[12:13] op_sel_hi:[1,0]
	v_pk_add_f32 v[116:117], v[140:141], v[142:143] neg_lo:[0,1] neg_hi:[0,1]
	v_pk_add_f32 v[136:137], v[144:145], v[140:141] neg_lo:[0,1] neg_hi:[0,1]
	;; [unrolled: 1-line block ×3, first 2 shown]
	v_pk_mul_f32 v[128:129], v[116:117], s[14:15] op_sel_hi:[1,0]
	v_pk_add_f32 v[136:137], v[136:137], v[138:139]
	v_pk_add_f32 v[138:139], v[60:61], v[70:71] op_sel:[0,1] op_sel_hi:[1,0]
	v_pk_add_f32 v[60:61], v[60:61], v[70:71] op_sel:[0,1] op_sel_hi:[1,0] neg_lo:[0,1] neg_hi:[0,1]
	v_pk_add_f32 v[70:71], v[138:139], v[128:129] op_sel:[0,1] op_sel_hi:[1,0]
	v_pk_add_f32 v[60:61], v[60:61], v[128:129] op_sel:[0,1] op_sel_hi:[1,0] neg_lo:[0,1] neg_hi:[0,1]
	v_mov_b32_e32 v128, v70
	v_mov_b32_e32 v129, v61
	v_pk_fma_f32 v[128:129], v[136:137], s[0:1], v[128:129] op_sel_hi:[1,0,1]
	ds_write_b64 v96, v[128:129] offset:2640
	v_pk_add_f32 v[128:129], v[144:145], v[146:147]
	v_pk_add_f32 v[138:139], v[142:143], v[146:147] neg_lo:[0,1] neg_hi:[0,1]
	v_pk_fma_f32 v[128:129], v[128:129], 0.5, v[130:131] op_sel_hi:[1,0,1] neg_lo:[1,0,0] neg_hi:[1,0,0]
	v_pk_add_f32 v[130:131], v[140:141], v[144:145] neg_lo:[0,1] neg_hi:[0,1]
	v_pk_mul_f32 v[116:117], v[116:117], s[12:13] op_sel_hi:[1,0]
	v_pk_add_f32 v[130:131], v[130:131], v[138:139]
	v_pk_mul_f32 v[64:65], v[64:65], s[14:15] op_sel_hi:[1,0]
	v_pk_add_f32 v[138:139], v[128:129], v[116:117] op_sel:[0,1] op_sel_hi:[1,0] neg_lo:[0,1] neg_hi:[0,1]
	v_pk_add_f32 v[116:117], v[128:129], v[116:117] op_sel:[0,1] op_sel_hi:[1,0]
	v_mov_b32_e32 v61, v71
	v_pk_add_f32 v[116:117], v[116:117], v[64:65] op_sel:[0,1] op_sel_hi:[1,0] neg_lo:[0,1] neg_hi:[0,1]
	v_pk_add_f32 v[64:65], v[138:139], v[64:65] op_sel:[0,1] op_sel_hi:[1,0]
	v_mov_b32_e32 v129, v117
	v_mov_b32_e32 v128, v64
	;; [unrolled: 1-line block ×3, first 2 shown]
	v_pk_fma_f32 v[128:129], v[130:131], s[0:1], v[128:129] op_sel_hi:[1,0,1]
	v_pk_fma_f32 v[64:65], v[130:131], s[0:1], v[116:117] op_sel_hi:[1,0,1]
	;; [unrolled: 1-line block ×3, first 2 shown]
	s_movk_i32 s0, 0x2000
	ds_write_b64 v96, v[60:61] offset:7920
	v_add_co_u32_e64 v60, s[0:1], s0, v54
	ds_write_b64 v96, v[128:129] offset:4400
	s_nop 0
	v_addc_co_u32_e64 v61, s[0:1], 0, v55, s[0:1]
	ds_write_b64 v96, v[64:65] offset:6160
	s_waitcnt lgkmcnt(0)
	s_barrier
	global_load_dwordx2 v[60:61], v[60:61], off offset:608
	s_movk_i32 s0, 0x3000
	v_add_co_u32_e64 v64, s[0:1], s0, v54
	v_mov_b32_e32 v126, v49
	s_nop 0
	v_addc_co_u32_e64 v65, s[0:1], 0, v55, s[0:1]
	global_load_dwordx2 v[70:71], v[64:65], off offset:912
	s_mov_b64 s[0:1], 0x2260
	v_lshl_add_u64 v[116:117], v[54:55], 0, s[0:1]
	global_load_dwordx2 v[142:143], v[116:117], off offset:880
	global_load_dwordx2 v[144:145], v[64:65], off offset:1792
	;; [unrolled: 1-line block ×7, first 2 shown]
	s_movk_i32 s0, 0x4000
	v_add_co_u32_e64 v54, s[0:1], s0, v54
	ds_read2_b64 v[128:131], v96 offset1:110
	s_nop 0
	v_addc_co_u32_e64 v55, s[0:1], 0, v55, s[0:1]
	global_load_dwordx2 v[54:55], v[54:55], off offset:336
	v_mov_b32_e32 v116, v41
	v_mov_b32_e32 v118, v37
	;; [unrolled: 1-line block ×3, first 2 shown]
	s_waitcnt vmcnt(9) lgkmcnt(0)
	v_mul_f32_e32 v23, v129, v61
	v_mul_f32_e32 v65, v128, v61
	v_fma_f32 v64, v128, v60, -v23
	v_fmac_f32_e32 v65, v129, v60
	ds_write_b64 v96, v[64:65]
	ds_read2_b64 v[136:139], v57 offset0:56 offset1:166
	s_waitcnt vmcnt(7)
	v_mul_f32_e32 v65, v130, v143
	v_fmac_f32_e32 v65, v131, v142
	s_waitcnt lgkmcnt(0)
	v_mul_f32_e32 v21, v139, v71
	v_mul_f32_e32 v61, v138, v71
	v_fma_f32 v60, v138, v70, -v21
	v_fmac_f32_e32 v61, v139, v70
	ds_read2_b64 v[138:141], v56 offset0:20 offset1:130
	v_mul_f32_e32 v21, v131, v143
	v_fma_f32 v64, v130, v142, -v21
	ds_read2_b64 v[128:131], v103 offset0:92 offset1:202
	s_waitcnt vmcnt(6) lgkmcnt(1)
	v_mul_f32_e32 v21, v139, v145
	v_mul_f32_e32 v71, v138, v145
	v_fma_f32 v70, v138, v144, -v21
	v_fmac_f32_e32 v71, v139, v144
	v_add_u32_e32 v21, 0x1000, v96
	ds_write2_b64 v21, v[60:61], v[70:71] offset0:38 offset1:148
	s_waitcnt vmcnt(5) lgkmcnt(1)
	v_mul_f32_e32 v23, v129, v147
	v_mul_f32_e32 v61, v128, v147
	v_fma_f32 v60, v128, v146, -v23
	v_fmac_f32_e32 v61, v129, v146
	ds_write2_b64 v96, v[64:65], v[60:61] offset0:110 offset1:220
	s_waitcnt vmcnt(4)
	v_mul_f32_e32 v23, v141, v149
	v_mul_f32_e32 v61, v140, v149
	v_fma_f32 v60, v140, v148, -v23
	v_fmac_f32_e32 v61, v141, v148
	ds_read2_b64 v[138:141], v101 offset0:112 offset1:222
	s_waitcnt vmcnt(3)
	v_mul_f32_e32 v23, v131, v151
	v_fma_f32 v64, v130, v150, -v23
	v_mul_f32_e32 v65, v130, v151
	v_fmac_f32_e32 v65, v131, v150
	s_waitcnt vmcnt(2) lgkmcnt(0)
	v_mul_f32_e32 v23, v139, v153
	v_mul_f32_e32 v71, v138, v153
	v_fma_f32 v70, v138, v152, -v23
	v_fmac_f32_e32 v71, v139, v152
	ds_write2_b64 v101, v[60:61], v[70:71] offset0:2 offset1:112
	s_waitcnt vmcnt(1)
	v_mul_f32_e32 v23, v137, v155
	v_mul_f32_e32 v61, v136, v155
	v_fma_f32 v60, v136, v154, -v23
	v_fmac_f32_e32 v61, v137, v154
	v_add_u32_e32 v23, 0x800, v96
	ds_write2_b64 v23, v[64:65], v[60:61] offset0:74 offset1:184
	s_waitcnt vmcnt(0)
	v_mul_f32_e32 v25, v141, v55
	v_mul_f32_e32 v61, v140, v55
	v_fma_f32 v60, v140, v54, -v25
	v_fmac_f32_e32 v61, v141, v54
	ds_write_b64 v96, v[60:61] offset:7920
	s_waitcnt lgkmcnt(0)
	s_barrier
	ds_read2_b64 v[136:139], v96 offset1:110
	ds_read2_b64 v[140:143], v57 offset0:56 offset1:166
	ds_read2_b64 v[144:147], v56 offset0:20 offset1:130
	;; [unrolled: 1-line block ×4, first 2 shown]
	s_waitcnt lgkmcnt(0)
	v_pk_add_f32 v[150:151], v[136:137], v[142:143] neg_lo:[0,1] neg_hi:[0,1]
	v_pk_add_f32 v[144:145], v[138:139], v[144:145] neg_lo:[0,1] neg_hi:[0,1]
	v_pk_fma_f32 v[148:149], v[136:137], 2.0, v[150:151] op_sel_hi:[1,0,1] neg_lo:[0,0,1] neg_hi:[0,0,1]
	v_pk_fma_f32 v[142:143], v[138:139], 2.0, v[144:145] op_sel_hi:[1,0,1] neg_lo:[0,0,1] neg_hi:[0,0,1]
	v_pk_add_f32 v[138:139], v[152:153], v[146:147] neg_lo:[0,1] neg_hi:[0,1]
	v_pk_add_f32 v[156:157], v[154:155], v[156:157] neg_lo:[0,1] neg_hi:[0,1]
	v_pk_fma_f32 v[136:137], v[152:153], 2.0, v[138:139] op_sel_hi:[1,0,1] neg_lo:[0,0,1] neg_hi:[0,0,1]
	v_pk_add_f32 v[160:161], v[140:141], v[158:159] neg_lo:[0,1] neg_hi:[0,1]
	v_pk_fma_f32 v[154:155], v[154:155], 2.0, v[156:157] op_sel_hi:[1,0,1] neg_lo:[0,0,1] neg_hi:[0,0,1]
	v_pk_fma_f32 v[158:159], v[140:141], 2.0, v[160:161] op_sel_hi:[1,0,1] neg_lo:[0,0,1] neg_hi:[0,0,1]
	s_barrier
	ds_write_b128 v87, v[148:151]
	ds_write_b128 v77, v[142:145]
	;; [unrolled: 1-line block ×5, first 2 shown]
	s_waitcnt lgkmcnt(0)
	s_barrier
	ds_read2_b64 v[136:139], v57 offset0:56 offset1:166
	ds_read2_b64 v[140:143], v96 offset1:110
	ds_read2_b64 v[58:61], v56 offset0:20 offset1:130
	ds_read2_b64 v[146:149], v101 offset0:112 offset1:222
	v_mov_b32_e32 v128, v29
	s_waitcnt lgkmcnt(3)
	v_pk_mul_f32 v[54:55], v[52:53], v[138:139]
	v_mov_b32_e32 v130, v33
	v_pk_fma_f32 v[56:57], v[68:69], v[138:139], v[54:55] op_sel:[0,0,1] op_sel_hi:[1,1,0]
	v_pk_fma_f32 v[54:55], v[68:69], v[138:139], v[54:55] op_sel:[0,0,1] op_sel_hi:[1,1,0] neg_lo:[0,0,1] neg_hi:[0,0,1]
	s_nop 0
	v_mov_b32_e32 v57, v55
	s_waitcnt lgkmcnt(2)
	v_pk_add_f32 v[54:55], v[140:141], v[56:57] neg_lo:[0,1] neg_hi:[0,1]
	s_waitcnt lgkmcnt(1)
	v_pk_mul_f32 v[56:57], v[52:53], v[58:59]
	s_nop 0
	v_pk_fma_f32 v[62:63], v[68:69], v[58:59], v[56:57] op_sel:[0,0,1] op_sel_hi:[1,1,0]
	v_pk_fma_f32 v[56:57], v[68:69], v[58:59], v[56:57] op_sel:[0,0,1] op_sel_hi:[1,1,0] neg_lo:[0,0,1] neg_hi:[0,0,1]
	s_nop 0
	v_mov_b32_e32 v63, v57
	v_pk_add_f32 v[58:59], v[142:143], v[62:63] neg_lo:[0,1] neg_hi:[0,1]
	v_pk_mul_f32 v[62:63], v[52:53], v[60:61]
	v_pk_fma_f32 v[56:57], v[142:143], 2.0, v[58:59] op_sel_hi:[1,0,1] neg_lo:[0,0,1] neg_hi:[0,0,1]
	ds_read2_b64 v[142:145], v103 offset0:92 offset1:202
	v_pk_fma_f32 v[64:65], v[68:69], v[60:61], v[62:63] op_sel:[0,0,1] op_sel_hi:[1,1,0]
	v_pk_fma_f32 v[60:61], v[68:69], v[60:61], v[62:63] op_sel:[0,0,1] op_sel_hi:[1,1,0] neg_lo:[0,0,1] neg_hi:[0,0,1]
	s_waitcnt lgkmcnt(0)
	v_mov_b32_e32 v65, v61
	v_pk_add_f32 v[62:63], v[142:143], v[64:65] neg_lo:[0,1] neg_hi:[0,1]
	v_pk_mul_f32 v[64:65], v[52:53], v[146:147]
	v_pk_mul_f32 v[52:53], v[52:53], v[148:149]
	v_pk_fma_f32 v[66:67], v[68:69], v[146:147], v[64:65] op_sel:[0,0,1] op_sel_hi:[1,1,0]
	v_pk_fma_f32 v[64:65], v[68:69], v[146:147], v[64:65] op_sel:[0,0,1] op_sel_hi:[1,1,0] neg_lo:[0,0,1] neg_hi:[0,0,1]
	v_pk_fma_f32 v[70:71], v[68:69], v[148:149], v[52:53] op_sel:[0,0,1] op_sel_hi:[1,1,0]
	v_pk_fma_f32 v[52:53], v[68:69], v[148:149], v[52:53] op_sel:[0,0,1] op_sel_hi:[1,1,0] neg_lo:[0,0,1] neg_hi:[0,0,1]
	v_mov_b32_e32 v67, v65
	v_mov_b32_e32 v71, v53
	v_pk_add_f32 v[66:67], v[144:145], v[66:67] neg_lo:[0,1] neg_hi:[0,1]
	v_pk_add_f32 v[70:71], v[136:137], v[70:71] neg_lo:[0,1] neg_hi:[0,1]
	v_pk_fma_f32 v[60:61], v[142:143], 2.0, v[62:63] op_sel_hi:[1,0,1] neg_lo:[0,0,1] neg_hi:[0,0,1]
	v_pk_fma_f32 v[64:65], v[144:145], 2.0, v[66:67] op_sel_hi:[1,0,1] neg_lo:[0,0,1] neg_hi:[0,0,1]
	;; [unrolled: 1-line block ×4, first 2 shown]
	s_barrier
	ds_write2_b64 v119, v[52:53], v[54:55] offset1:2
	ds_write2_b64 v121, v[56:57], v[58:59] offset1:2
	ds_write2_b64 v123, v[60:61], v[62:63] offset1:2
	ds_write2_b64 v125, v[64:65], v[66:67] offset1:2
	ds_write2_b64 v127, v[68:69], v[70:71] offset1:2
	s_waitcnt lgkmcnt(0)
	s_barrier
	s_and_saveexec_b64 s[0:1], vcc
	s_cbranch_execz .LBB0_7
; %bb.6:
	ds_read2_b64 v[52:55], v96 offset1:100
	ds_read2_b64 v[56:59], v103 offset0:72 offset1:172
	ds_read2_b64 v[60:63], v23 offset0:144 offset1:244
	;; [unrolled: 1-line block ×4, first 2 shown]
	ds_read_b64 v[98:99], v96 offset:8000
.LBB0_7:
	s_or_b64 exec, exec, s[0:1]
	v_mov_b32_e32 v33, v32
	v_mov_b32_e32 v131, v130
	;; [unrolled: 1-line block ×32, first 2 shown]
	s_waitcnt lgkmcnt(0)
	s_barrier
	s_and_saveexec_b64 s[0:1], vcc
	s_cbranch_execz .LBB0_9
; %bb.8:
	v_pk_mul_f32 v[138:139], v[18:19], v[98:99] op_sel:[0,1]
	v_pk_mul_f32 v[142:143], v[16:17], v[70:71] op_sel:[0,1]
	v_mul_u32_u24_e32 v77, 44, v134
	v_pk_fma_f32 v[134:135], v[18:19], v[98:99], v[138:139] op_sel:[0,0,1] op_sel_hi:[1,1,0]
	v_pk_fma_f32 v[18:19], v[18:19], v[98:99], v[138:139] op_sel:[0,0,1] op_sel_hi:[1,0,0] neg_lo:[1,0,0] neg_hi:[1,0,0]
	v_pk_mul_f32 v[140:141], v[2:3], v[56:57] op_sel:[0,1]
	v_mov_b32_e32 v135, v19
	v_pk_fma_f32 v[18:19], v[16:17], v[70:71], v[142:143] op_sel:[0,0,1] op_sel_hi:[1,1,0]
	v_pk_fma_f32 v[16:17], v[16:17], v[70:71], v[142:143] op_sel:[0,0,1] op_sel_hi:[1,0,0] neg_lo:[1,0,0] neg_hi:[1,0,0]
	v_pk_mul_f32 v[146:147], v[14:15], v[68:69] op_sel:[0,1]
	v_mov_b32_e32 v19, v17
	;; [unrolled: 4-line block ×8, first 2 shown]
	v_pk_fma_f32 v[6:7], v[4:5], v[62:63], v[152:153] op_sel:[0,0,1] op_sel_hi:[1,1,0]
	v_pk_fma_f32 v[4:5], v[4:5], v[62:63], v[152:153] op_sel:[0,0,1] op_sel_hi:[1,0,0] neg_lo:[1,0,0] neg_hi:[1,0,0]
	s_mov_b32 s18, 0xbf0a6770
	v_mov_b32_e32 v7, v5
	v_pk_fma_f32 v[4:5], v[0:1], v[54:55], v[136:137] op_sel:[0,0,1] op_sel_hi:[1,1,0]
	v_pk_fma_f32 v[0:1], v[0:1], v[54:55], v[136:137] op_sel:[0,0,1] op_sel_hi:[1,0,0] neg_lo:[1,0,0] neg_hi:[1,0,0]
	v_pk_add_f32 v[56:57], v[16:17], v[18:19] neg_lo:[0,1] neg_hi:[0,1]
	v_mov_b32_e32 v5, v1
	v_pk_add_f32 v[0:1], v[4:5], v[134:135] neg_lo:[0,1] neg_hi:[0,1]
	v_pk_add_f32 v[54:55], v[134:135], v[4:5]
	s_mov_b32 s8, 0x3f575c64
	v_pk_mul_f32 v[98:99], v[0:1], s[18:19] op_sel_hi:[1,0]
	s_mov_b32 s26, 0xbf68dda4
	v_pk_add_f32 v[58:59], v[18:19], v[16:17]
	v_pk_fma_f32 v[136:137], v[54:55], s[8:9], v[98:99] op_sel:[0,0,1] op_sel_hi:[1,0,0]
	v_pk_fma_f32 v[98:99], v[54:55], s[8:9], v[98:99] op_sel:[0,0,1] op_sel_hi:[1,0,0] neg_lo:[0,0,1] neg_hi:[0,0,1]
	s_mov_b32 s10, 0x3ed4b147
	v_pk_mul_f32 v[140:141], v[56:57], s[26:27] op_sel_hi:[1,0]
	v_mov_b32_e32 v138, v136
	v_mov_b32_e32 v139, v99
	v_pk_fma_f32 v[142:143], v[58:59], s[10:11], v[140:141] op_sel:[0,0,1] op_sel_hi:[1,0,0]
	v_pk_fma_f32 v[140:141], v[58:59], s[10:11], v[140:141] op_sel:[0,0,1] op_sel_hi:[1,0,0] neg_lo:[0,0,1] neg_hi:[0,0,1]
	v_pk_add_f32 v[60:61], v[14:15], v[2:3] neg_lo:[0,1] neg_hi:[0,1]
	v_pk_add_f32 v[138:139], v[52:53], v[138:139]
	v_mov_b32_e32 v144, v142
	v_mov_b32_e32 v145, v141
	s_mov_b32 s16, 0xbf7d64f0
	v_pk_add_f32 v[62:63], v[2:3], v[14:15]
	v_pk_add_f32 v[138:139], v[144:145], v[138:139]
	s_mov_b32 s12, 0xbe11bafb
	v_pk_mul_f32 v[144:145], v[60:61], s[16:17] op_sel_hi:[1,0]
	v_pk_add_f32 v[4:5], v[52:53], v[4:5]
	v_pk_fma_f32 v[146:147], v[62:63], s[12:13], v[144:145] op_sel:[0,0,1] op_sel_hi:[1,0,0]
	v_pk_fma_f32 v[144:145], v[62:63], s[12:13], v[144:145] op_sel:[0,0,1] op_sel_hi:[1,0,0] neg_lo:[0,0,1] neg_hi:[0,0,1]
	v_pk_add_f32 v[4:5], v[16:17], v[4:5]
	v_pk_add_f32 v[64:65], v[12:13], v[8:9] neg_lo:[0,1] neg_hi:[0,1]
	v_mov_b32_e32 v148, v146
	v_mov_b32_e32 v149, v145
	s_mov_b32 s20, 0xbf4178ce
	v_pk_add_f32 v[4:5], v[14:15], v[4:5]
	v_pk_add_f32 v[66:67], v[8:9], v[12:13]
	;; [unrolled: 1-line block ×3, first 2 shown]
	s_mov_b32 s14, 0xbf27a4f4
	v_pk_mul_f32 v[148:149], v[64:65], s[20:21] op_sel_hi:[1,0]
	v_pk_add_f32 v[4:5], v[12:13], v[4:5]
	v_pk_fma_f32 v[150:151], v[66:67], s[14:15], v[148:149] op_sel:[0,0,1] op_sel_hi:[1,0,0]
	v_pk_fma_f32 v[148:149], v[66:67], s[14:15], v[148:149] op_sel:[0,0,1] op_sel_hi:[1,0,0] neg_lo:[0,0,1] neg_hi:[0,0,1]
	v_pk_add_f32 v[4:5], v[6:7], v[4:5]
	v_pk_add_f32 v[68:69], v[6:7], v[10:11] neg_lo:[0,1] neg_hi:[0,1]
	v_mov_b32_e32 v152, v150
	v_mov_b32_e32 v153, v149
	s_mov_b32 s24, 0xbe903f40
	v_pk_add_f32 v[4:5], v[10:11], v[4:5]
	v_pk_add_f32 v[70:71], v[10:11], v[6:7]
	;; [unrolled: 1-line block ×3, first 2 shown]
	s_mov_b32 s22, 0xbf75a155
	v_pk_mul_f32 v[152:153], v[68:69], s[24:25] op_sel_hi:[1,0]
	v_pk_add_f32 v[4:5], v[8:9], v[4:5]
	v_pk_fma_f32 v[154:155], v[70:71], s[22:23], v[152:153] op_sel:[0,0,1] op_sel_hi:[1,0,0]
	v_pk_fma_f32 v[152:153], v[70:71], s[22:23], v[152:153] op_sel:[0,0,1] op_sel_hi:[1,0,0] neg_lo:[0,0,1] neg_hi:[0,0,1]
	v_pk_add_f32 v[2:3], v[2:3], v[4:5]
	v_or_b32_e32 v77, v77, v97
	v_mov_b32_e32 v156, v154
	v_mov_b32_e32 v157, v153
	v_pk_add_f32 v[2:3], v[18:19], v[2:3]
	v_lshlrev_b32_e32 v77, 3, v77
	v_pk_add_f32 v[138:139], v[156:157], v[138:139]
	v_pk_add_f32 v[2:3], v[134:135], v[2:3]
	ds_write2_b64 v77, v[2:3], v[138:139] offset1:4
	v_pk_mul_f32 v[2:3], v[0:1], s[26:27] op_sel_hi:[1,0]
	v_pk_mul_f32 v[8:9], v[56:57], s[20:21] op_sel_hi:[1,0]
	v_pk_fma_f32 v[4:5], v[54:55], s[10:11], v[2:3] op_sel:[0,0,1] op_sel_hi:[1,0,0]
	v_pk_fma_f32 v[2:3], v[54:55], s[10:11], v[2:3] op_sel:[0,0,1] op_sel_hi:[1,0,0] neg_lo:[0,0,1] neg_hi:[0,0,1]
	v_mov_b32_e32 v6, v4
	v_mov_b32_e32 v7, v3
	v_pk_fma_f32 v[10:11], v[58:59], s[14:15], v[8:9] op_sel:[0,0,1] op_sel_hi:[1,0,0]
	v_pk_fma_f32 v[8:9], v[58:59], s[14:15], v[8:9] op_sel:[0,0,1] op_sel_hi:[1,0,0] neg_lo:[0,0,1] neg_hi:[0,0,1]
	v_pk_add_f32 v[6:7], v[52:53], v[6:7]
	v_mov_b32_e32 v12, v10
	v_mov_b32_e32 v13, v9
	s_mov_b32 s26, 0x3e903f40
	v_pk_add_f32 v[6:7], v[12:13], v[6:7]
	v_pk_mul_f32 v[12:13], v[60:61], s[26:27] op_sel_hi:[1,0]
	s_mov_b32 s28, 0x3f7d64f0
	v_pk_fma_f32 v[14:15], v[62:63], s[22:23], v[12:13] op_sel:[0,0,1] op_sel_hi:[1,0,0]
	v_pk_fma_f32 v[12:13], v[62:63], s[22:23], v[12:13] op_sel:[0,0,1] op_sel_hi:[1,0,0] neg_lo:[0,0,1] neg_hi:[0,0,1]
	v_mov_b32_e32 v16, v14
	v_mov_b32_e32 v17, v13
	v_pk_add_f32 v[6:7], v[16:17], v[6:7]
	v_pk_mul_f32 v[16:17], v[64:65], s[28:29] op_sel_hi:[1,0]
	s_mov_b32 s30, 0x3f0a6770
	v_pk_fma_f32 v[18:19], v[66:67], s[12:13], v[16:17] op_sel:[0,0,1] op_sel_hi:[1,0,0]
	v_pk_fma_f32 v[16:17], v[66:67], s[12:13], v[16:17] op_sel:[0,0,1] op_sel_hi:[1,0,0] neg_lo:[0,0,1] neg_hi:[0,0,1]
	v_mov_b32_e32 v134, v18
	v_mov_b32_e32 v135, v17
	v_pk_add_f32 v[6:7], v[134:135], v[6:7]
	v_pk_mul_f32 v[134:135], v[68:69], s[30:31] op_sel_hi:[1,0]
	v_pk_mul_f32 v[158:159], v[56:57], s[26:27] op_sel_hi:[1,0]
	v_pk_fma_f32 v[138:139], v[70:71], s[8:9], v[134:135] op_sel:[0,0,1] op_sel_hi:[1,0,0]
	v_pk_fma_f32 v[134:135], v[70:71], s[8:9], v[134:135] op_sel:[0,0,1] op_sel_hi:[1,0,0] neg_lo:[0,0,1] neg_hi:[0,0,1]
	v_mov_b32_e32 v156, v138
	v_mov_b32_e32 v157, v135
	v_pk_add_f32 v[6:7], v[156:157], v[6:7]
	v_pk_mul_f32 v[156:157], v[0:1], s[16:17] op_sel_hi:[1,0]
	s_mov_b32 s26, 0x3f68dda4
	v_pk_fma_f32 v[166:167], v[54:55], s[12:13], v[156:157] op_sel:[0,0,1] op_sel_hi:[1,0,0]
	v_pk_fma_f32 v[156:157], v[54:55], s[12:13], v[156:157] op_sel:[0,0,1] op_sel_hi:[1,0,0] neg_lo:[0,0,1] neg_hi:[0,0,1]
	v_mov_b32_e32 v168, v166
	v_mov_b32_e32 v169, v157
	v_pk_fma_f32 v[170:171], v[58:59], s[22:23], v[158:159] op_sel:[0,0,1] op_sel_hi:[1,0,0]
	v_pk_fma_f32 v[158:159], v[58:59], s[22:23], v[158:159] op_sel:[0,0,1] op_sel_hi:[1,0,0] neg_lo:[0,0,1] neg_hi:[0,0,1]
	v_pk_mul_f32 v[160:161], v[60:61], s[26:27] op_sel_hi:[1,0]
	v_pk_add_f32 v[168:169], v[52:53], v[168:169]
	v_mov_b32_e32 v172, v170
	v_mov_b32_e32 v173, v159
	v_pk_add_f32 v[168:169], v[172:173], v[168:169]
	v_pk_fma_f32 v[172:173], v[62:63], s[10:11], v[160:161] op_sel:[0,0,1] op_sel_hi:[1,0,0]
	v_pk_fma_f32 v[160:161], v[62:63], s[10:11], v[160:161] op_sel:[0,0,1] op_sel_hi:[1,0,0] neg_lo:[0,0,1] neg_hi:[0,0,1]
	v_pk_mul_f32 v[162:163], v[64:65], s[18:19] op_sel_hi:[1,0]
	v_mov_b32_e32 v174, v172
	v_mov_b32_e32 v175, v161
	v_pk_add_f32 v[168:169], v[174:175], v[168:169]
	v_pk_fma_f32 v[174:175], v[66:67], s[8:9], v[162:163] op_sel:[0,0,1] op_sel_hi:[1,0,0]
	v_pk_fma_f32 v[162:163], v[66:67], s[8:9], v[162:163] op_sel:[0,0,1] op_sel_hi:[1,0,0] neg_lo:[0,0,1] neg_hi:[0,0,1]
	v_pk_mul_f32 v[164:165], v[68:69], s[20:21] op_sel_hi:[1,0]
	v_mov_b32_e32 v176, v174
	v_mov_b32_e32 v177, v163
	v_pk_add_f32 v[168:169], v[176:177], v[168:169]
	v_pk_fma_f32 v[176:177], v[70:71], s[14:15], v[164:165] op_sel:[0,0,1] op_sel_hi:[1,0,0]
	v_pk_fma_f32 v[164:165], v[70:71], s[14:15], v[164:165] op_sel:[0,0,1] op_sel_hi:[1,0,0] neg_lo:[0,0,1] neg_hi:[0,0,1]
	v_mov_b32_e32 v178, v176
	v_mov_b32_e32 v179, v165
	v_pk_add_f32 v[168:169], v[178:179], v[168:169]
	ds_write2_b64 v77, v[6:7], v[168:169] offset0:8 offset1:12
	v_pk_mul_f32 v[6:7], v[0:1], s[20:21] op_sel_hi:[1,0]
	v_pk_mul_f32 v[180:181], v[56:57], s[28:29] op_sel_hi:[1,0]
	v_pk_fma_f32 v[168:169], v[54:55], s[14:15], v[6:7] op_sel:[0,0,1] op_sel_hi:[1,0,0]
	v_pk_fma_f32 v[6:7], v[54:55], s[14:15], v[6:7] op_sel:[0,0,1] op_sel_hi:[1,0,0] neg_lo:[0,0,1] neg_hi:[0,0,1]
	v_mov_b32_e32 v178, v168
	v_mov_b32_e32 v179, v7
	v_pk_fma_f32 v[182:183], v[58:59], s[12:13], v[180:181] op_sel:[0,0,1] op_sel_hi:[1,0,0]
	v_pk_fma_f32 v[180:181], v[58:59], s[12:13], v[180:181] op_sel:[0,0,1] op_sel_hi:[1,0,0] neg_lo:[0,0,1] neg_hi:[0,0,1]
	v_pk_add_f32 v[178:179], v[52:53], v[178:179]
	v_mov_b32_e32 v184, v182
	v_mov_b32_e32 v185, v181
	v_pk_add_f32 v[178:179], v[184:185], v[178:179]
	v_pk_mul_f32 v[184:185], v[60:61], s[18:19] op_sel_hi:[1,0]
	v_pk_mul_f32 v[0:1], v[0:1], s[24:25] op_sel_hi:[1,0]
	v_pk_fma_f32 v[186:187], v[62:63], s[8:9], v[184:185] op_sel:[0,0,1] op_sel_hi:[1,0,0]
	v_pk_fma_f32 v[184:185], v[62:63], s[8:9], v[184:185] op_sel:[0,0,1] op_sel_hi:[1,0,0] neg_lo:[0,0,1] neg_hi:[0,0,1]
	v_mov_b32_e32 v188, v186
	v_mov_b32_e32 v189, v185
	v_pk_add_f32 v[178:179], v[188:189], v[178:179]
	v_pk_mul_f32 v[188:189], v[64:65], s[24:25] op_sel_hi:[1,0]
	v_pk_mul_f32 v[56:57], v[56:57], s[30:31] op_sel_hi:[1,0]
	v_pk_fma_f32 v[190:191], v[66:67], s[22:23], v[188:189] op_sel:[0,0,1] op_sel_hi:[1,0,0]
	v_pk_fma_f32 v[188:189], v[66:67], s[22:23], v[188:189] op_sel:[0,0,1] op_sel_hi:[1,0,0] neg_lo:[0,0,1] neg_hi:[0,0,1]
	v_mov_b32_e32 v192, v190
	v_mov_b32_e32 v193, v189
	v_pk_add_f32 v[178:179], v[192:193], v[178:179]
	v_pk_mul_f32 v[192:193], v[68:69], s[26:27] op_sel_hi:[1,0]
	v_pk_fma_f32 v[198:199], v[58:59], s[8:9], v[56:57] op_sel:[0,0,1] op_sel_hi:[1,0,0]
	v_pk_fma_f32 v[194:195], v[70:71], s[10:11], v[192:193] op_sel:[0,0,1] op_sel_hi:[1,0,0]
	v_pk_fma_f32 v[192:193], v[70:71], s[10:11], v[192:193] op_sel:[0,0,1] op_sel_hi:[1,0,0] neg_lo:[0,0,1] neg_hi:[0,0,1]
	v_mov_b32_e32 v196, v194
	v_mov_b32_e32 v197, v193
	v_pk_add_f32 v[178:179], v[196:197], v[178:179]
	v_pk_fma_f32 v[196:197], v[54:55], s[22:23], v[0:1] op_sel:[0,0,1] op_sel_hi:[1,0,0]
	v_pk_fma_f32 v[0:1], v[54:55], s[22:23], v[0:1] op_sel:[0,0,1] op_sel_hi:[1,0,0] neg_lo:[0,0,1] neg_hi:[0,0,1]
	v_mov_b32_e32 v54, v196
	v_mov_b32_e32 v55, v1
	v_pk_fma_f32 v[56:57], v[58:59], s[8:9], v[56:57] op_sel:[0,0,1] op_sel_hi:[1,0,0] neg_lo:[0,0,1] neg_hi:[0,0,1]
	v_pk_mul_f32 v[60:61], v[60:61], s[20:21] op_sel_hi:[1,0]
	v_pk_add_f32 v[54:55], v[52:53], v[54:55]
	v_mov_b32_e32 v58, v198
	v_mov_b32_e32 v59, v57
	v_pk_add_f32 v[54:55], v[58:59], v[54:55]
	v_pk_fma_f32 v[58:59], v[62:63], s[14:15], v[60:61] op_sel:[0,0,1] op_sel_hi:[1,0,0]
	v_pk_fma_f32 v[60:61], v[62:63], s[14:15], v[60:61] op_sel:[0,0,1] op_sel_hi:[1,0,0] neg_lo:[0,0,1] neg_hi:[0,0,1]
	v_pk_mul_f32 v[64:65], v[64:65], s[26:27] op_sel_hi:[1,0]
	v_mov_b32_e32 v62, v58
	v_mov_b32_e32 v63, v61
	;; [unrolled: 1-line block ×4, first 2 shown]
	v_pk_add_f32 v[54:55], v[62:63], v[54:55]
	v_pk_fma_f32 v[62:63], v[66:67], s[10:11], v[64:65] op_sel:[0,0,1] op_sel_hi:[1,0,0]
	v_pk_fma_f32 v[64:65], v[66:67], s[10:11], v[64:65] op_sel:[0,0,1] op_sel_hi:[1,0,0] neg_lo:[0,0,1] neg_hi:[0,0,1]
	v_pk_add_f32 v[0:1], v[52:53], v[0:1]
	v_mov_b32_e32 v57, v199
	v_pk_add_f32 v[6:7], v[52:53], v[6:7]
	v_mov_b32_e32 v181, v183
	v_pk_mul_f32 v[68:69], v[68:69], s[16:17] op_sel_hi:[1,0]
	v_mov_b32_e32 v66, v62
	v_mov_b32_e32 v67, v65
	v_pk_add_f32 v[0:1], v[56:57], v[0:1]
	v_mov_b32_e32 v61, v59
	v_pk_add_f32 v[6:7], v[180:181], v[6:7]
	;; [unrolled: 2-line block ×3, first 2 shown]
	v_pk_fma_f32 v[66:67], v[70:71], s[12:13], v[68:69] op_sel:[0,0,1] op_sel_hi:[1,0,0]
	v_pk_fma_f32 v[68:69], v[70:71], s[12:13], v[68:69] op_sel:[0,0,1] op_sel_hi:[1,0,0] neg_lo:[0,0,1] neg_hi:[0,0,1]
	v_pk_add_f32 v[0:1], v[60:61], v[0:1]
	v_mov_b32_e32 v65, v63
	v_pk_add_f32 v[6:7], v[184:185], v[6:7]
	v_mov_b32_e32 v189, v191
	v_mov_b32_e32 v71, v69
	v_pk_add_f32 v[0:1], v[64:65], v[0:1]
	v_mov_b32_e32 v69, v67
	v_pk_add_f32 v[6:7], v[188:189], v[6:7]
	;; [unrolled: 2-line block ×3, first 2 shown]
	v_pk_add_f32 v[6:7], v[192:193], v[6:7]
	v_mov_b32_e32 v157, v167
	v_mov_b32_e32 v3, v5
	ds_write2_b64 v77, v[0:1], v[6:7] offset0:24 offset1:28
	v_pk_add_f32 v[0:1], v[52:53], v[156:157]
	v_mov_b32_e32 v159, v171
	v_pk_add_f32 v[2:3], v[52:53], v[2:3]
	v_mov_b32_e32 v9, v11
	v_pk_add_f32 v[0:1], v[158:159], v[0:1]
	v_mov_b32_e32 v161, v173
	v_pk_add_f32 v[2:3], v[8:9], v[2:3]
	v_mov_b32_e32 v13, v15
	v_pk_add_f32 v[0:1], v[160:161], v[0:1]
	v_mov_b32_e32 v163, v175
	v_pk_add_f32 v[2:3], v[12:13], v[2:3]
	v_mov_b32_e32 v17, v19
	v_pk_add_f32 v[0:1], v[162:163], v[0:1]
	v_mov_b32_e32 v165, v177
	v_pk_add_f32 v[2:3], v[16:17], v[2:3]
	v_mov_b32_e32 v135, v139
	v_pk_add_f32 v[0:1], v[164:165], v[0:1]
	v_pk_add_f32 v[2:3], v[134:135], v[2:3]
	v_mov_b32_e32 v99, v137
	ds_write2_b64 v77, v[0:1], v[2:3] offset0:32 offset1:36
	v_pk_add_f32 v[0:1], v[52:53], v[98:99]
	v_mov_b32_e32 v141, v143
	v_pk_add_f32 v[0:1], v[140:141], v[0:1]
	v_mov_b32_e32 v145, v147
	;; [unrolled: 2-line block ×3, first 2 shown]
	v_mov_b32_e32 v70, v66
	v_pk_add_f32 v[0:1], v[148:149], v[0:1]
	v_mov_b32_e32 v153, v155
	v_pk_add_f32 v[54:55], v[70:71], v[54:55]
	v_pk_add_f32 v[0:1], v[152:153], v[0:1]
	ds_write2_b64 v77, v[178:179], v[54:55] offset0:16 offset1:20
	ds_write_b64 v77, v[0:1] offset:320
.LBB0_9:
	s_or_b64 exec, exec, s[0:1]
	v_add_u32_e32 v60, 0x400, v96
	s_waitcnt lgkmcnt(0)
	s_barrier
	ds_read2_b64 v[8:11], v60 offset0:92 offset1:202
	v_add_u32_e32 v61, 0xc00, v96
	ds_read2_b64 v[12:15], v61 offset0:56 offset1:166
	v_add_u32_e32 v62, 0x1400, v96
	;; [unrolled: 2-line block ×3, first 2 shown]
	s_waitcnt lgkmcnt(2)
	v_pk_mul_f32 v[56:57], v[130:131], v[10:11]
	ds_read2_b64 v[52:55], v63 offset0:112 offset1:222
	v_pk_fma_f32 v[58:59], v[32:33], v[10:11], v[56:57] op_sel:[0,0,1] op_sel_hi:[1,1,0]
	v_pk_fma_f32 v[10:11], v[32:33], v[10:11], v[56:57] op_sel:[0,0,1] op_sel_hi:[1,1,0] neg_lo:[0,0,1] neg_hi:[0,0,1]
	ds_read2_b64 v[4:7], v96 offset1:110
	v_mov_b32_e32 v59, v11
	s_waitcnt lgkmcnt(3)
	v_pk_mul_f32 v[10:11], v[110:111], v[14:15]
	v_mov_b32_e32 v0, s2
	v_pk_fma_f32 v[32:33], v[34:35], v[14:15], v[10:11] op_sel:[0,0,1] op_sel_hi:[1,1,0]
	v_pk_fma_f32 v[10:11], v[34:35], v[14:15], v[10:11] op_sel:[0,0,1] op_sel_hi:[1,1,0] neg_lo:[0,0,1] neg_hi:[0,0,1]
	s_mov_b32 s2, 0x3f737871
	v_mov_b32_e32 v33, v11
	s_waitcnt lgkmcnt(2)
	v_pk_mul_f32 v[10:11], v[128:129], v[18:19]
	v_mad_u64_u32 v[2:3], s[0:1], s6, v86, 0
	v_pk_fma_f32 v[14:15], v[28:29], v[18:19], v[10:11] op_sel:[0,0,1] op_sel_hi:[1,1,0]
	v_pk_fma_f32 v[10:11], v[28:29], v[18:19], v[10:11] op_sel:[0,0,1] op_sel_hi:[1,1,0] neg_lo:[0,0,1] neg_hi:[0,0,1]
	v_pk_mul_f32 v[28:29], v[124:125], v[8:9]
	v_mov_b32_e32 v15, v11
	s_waitcnt lgkmcnt(1)
	v_pk_mul_f32 v[10:11], v[106:107], v[54:55]
	s_mov_b32 s6, 0x3f167918
	v_pk_fma_f32 v[18:19], v[30:31], v[54:55], v[10:11] op_sel:[0,0,1] op_sel_hi:[1,1,0]
	v_pk_fma_f32 v[10:11], v[30:31], v[54:55], v[10:11] op_sel:[0,0,1] op_sel_hi:[1,1,0] neg_lo:[0,0,1] neg_hi:[0,0,1]
	v_pk_fma_f32 v[30:31], v[24:25], v[8:9], v[28:29] op_sel:[0,0,1] op_sel_hi:[1,1,0]
	v_pk_fma_f32 v[8:9], v[24:25], v[8:9], v[28:29] op_sel:[0,0,1] op_sel_hi:[1,1,0] neg_lo:[0,0,1] neg_hi:[0,0,1]
	s_mov_b32 s0, 0x3e9e377a
	v_mov_b32_e32 v31, v9
	v_pk_mul_f32 v[8:9], v[102:103], v[12:13]
	s_waitcnt lgkmcnt(0)
	v_pk_fma_f32 v[24:25], v[26:27], v[12:13], v[8:9] op_sel:[0,0,1] op_sel_hi:[1,1,0]
	v_pk_fma_f32 v[8:9], v[26:27], v[12:13], v[8:9] op_sel:[0,0,1] op_sel_hi:[1,1,0] neg_lo:[0,0,1] neg_hi:[0,0,1]
	s_barrier
	v_mov_b32_e32 v25, v9
	v_pk_mul_f32 v[8:9], v[122:123], v[16:17]
	s_nop 0
	v_pk_fma_f32 v[12:13], v[20:21], v[16:17], v[8:9] op_sel:[0,0,1] op_sel_hi:[1,1,0]
	v_pk_fma_f32 v[8:9], v[20:21], v[16:17], v[8:9] op_sel:[0,0,1] op_sel_hi:[1,1,0] neg_lo:[0,0,1] neg_hi:[0,0,1]
	v_mov_b32_e32 v19, v11
	v_mov_b32_e32 v13, v9
	v_pk_mul_f32 v[8:9], v[100:101], v[52:53]
	v_pk_add_f32 v[20:21], v[24:25], v[12:13]
	v_pk_fma_f32 v[16:17], v[22:23], v[52:53], v[8:9] op_sel:[0,0,1] op_sel_hi:[1,1,0]
	v_pk_fma_f32 v[8:9], v[22:23], v[52:53], v[8:9] op_sel:[0,0,1] op_sel_hi:[1,1,0] neg_lo:[0,0,1] neg_hi:[0,0,1]
	v_pk_fma_f32 v[20:21], v[20:21], 0.5, v[4:5] op_sel_hi:[1,0,1] neg_lo:[1,0,0] neg_hi:[1,0,0]
	v_mov_b32_e32 v17, v9
	v_pk_add_f32 v[22:23], v[30:31], v[16:17] neg_lo:[0,1] neg_hi:[0,1]
	v_pk_add_f32 v[28:29], v[24:25], v[12:13] neg_lo:[0,1] neg_hi:[0,1]
	v_pk_mul_f32 v[26:27], v[22:23], s[2:3] op_sel_hi:[1,0]
	v_pk_add_f32 v[52:53], v[30:31], v[24:25] neg_lo:[0,1] neg_hi:[0,1]
	v_pk_add_f32 v[54:55], v[16:17], v[12:13] neg_lo:[0,1] neg_hi:[0,1]
	v_pk_add_f32 v[8:9], v[4:5], v[30:31]
	v_pk_mul_f32 v[34:35], v[28:29], s[6:7] op_sel_hi:[1,0]
	v_pk_add_f32 v[52:53], v[52:53], v[54:55]
	v_pk_add_f32 v[54:55], v[20:21], v[26:27] op_sel:[0,1] op_sel_hi:[1,0] neg_lo:[0,1] neg_hi:[0,1]
	v_pk_add_f32 v[20:21], v[20:21], v[26:27] op_sel:[0,1] op_sel_hi:[1,0]
	v_pk_add_f32 v[8:9], v[8:9], v[24:25]
	v_pk_add_f32 v[20:21], v[20:21], v[34:35] op_sel:[0,1] op_sel_hi:[1,0]
	v_pk_add_f32 v[26:27], v[54:55], v[34:35] op_sel:[0,1] op_sel_hi:[1,0] neg_lo:[0,1] neg_hi:[0,1]
	v_pk_add_f32 v[8:9], v[8:9], v[12:13]
	v_mov_b32_e32 v34, v26
	v_mov_b32_e32 v35, v21
	v_pk_add_f32 v[8:9], v[8:9], v[16:17]
	v_pk_fma_f32 v[34:35], v[52:53], s[0:1], v[34:35] op_sel_hi:[1,0,1]
	ds_write2_b64 v133, v[8:9], v[34:35] offset1:44
	v_pk_add_f32 v[8:9], v[30:31], v[16:17]
	v_pk_add_f32 v[12:13], v[12:13], v[16:17] neg_lo:[0,1] neg_hi:[0,1]
	v_pk_fma_f32 v[4:5], v[8:9], 0.5, v[4:5] op_sel_hi:[1,0,1] neg_lo:[1,0,0] neg_hi:[1,0,0]
	v_pk_add_f32 v[8:9], v[24:25], v[30:31] neg_lo:[0,1] neg_hi:[0,1]
	v_pk_mul_f32 v[16:17], v[22:23], s[6:7] op_sel_hi:[1,0]
	v_pk_add_f32 v[8:9], v[8:9], v[12:13]
	v_pk_mul_f32 v[12:13], v[28:29], s[2:3] op_sel_hi:[1,0]
	v_mov_b32_e32 v21, v27
	v_pk_add_f32 v[22:23], v[4:5], v[12:13] op_sel:[0,1] op_sel_hi:[1,0]
	v_pk_add_f32 v[4:5], v[4:5], v[12:13] op_sel:[0,1] op_sel_hi:[1,0] neg_lo:[0,1] neg_hi:[0,1]
	v_pk_add_f32 v[12:13], v[22:23], v[16:17] op_sel:[0,1] op_sel_hi:[1,0] neg_lo:[0,1] neg_hi:[0,1]
	v_pk_add_f32 v[4:5], v[4:5], v[16:17] op_sel:[0,1] op_sel_hi:[1,0]
	v_mov_b32_e32 v16, v12
	v_mov_b32_e32 v17, v5
	;; [unrolled: 1-line block ×3, first 2 shown]
	v_pk_fma_f32 v[16:17], v[8:9], s[0:1], v[16:17] op_sel_hi:[1,0,1]
	v_pk_fma_f32 v[4:5], v[8:9], s[0:1], v[4:5] op_sel_hi:[1,0,1]
	ds_write2_b64 v133, v[16:17], v[4:5] offset0:88 offset1:132
	v_pk_fma_f32 v[4:5], v[52:53], s[0:1], v[20:21] op_sel_hi:[1,0,1]
	ds_write_b64 v133, v[4:5] offset:1408
	v_pk_add_f32 v[4:5], v[32:33], v[14:15]
	v_pk_add_f32 v[8:9], v[58:59], v[18:19] neg_lo:[0,1] neg_hi:[0,1]
	v_pk_fma_f32 v[4:5], v[4:5], 0.5, v[6:7] op_sel_hi:[1,0,1] neg_lo:[1,0,0] neg_hi:[1,0,0]
	v_pk_mul_f32 v[12:13], v[8:9], s[2:3] op_sel_hi:[1,0]
	v_pk_add_f32 v[16:17], v[32:33], v[14:15] neg_lo:[0,1] neg_hi:[0,1]
	v_pk_add_f32 v[22:23], v[58:59], v[32:33] neg_lo:[0,1] neg_hi:[0,1]
	;; [unrolled: 1-line block ×3, first 2 shown]
	v_pk_add_f32 v[10:11], v[6:7], v[58:59]
	v_pk_mul_f32 v[20:21], v[16:17], s[6:7] op_sel_hi:[1,0]
	v_pk_add_f32 v[22:23], v[22:23], v[24:25]
	v_pk_add_f32 v[24:25], v[4:5], v[12:13] op_sel:[0,1] op_sel_hi:[1,0] neg_lo:[0,1] neg_hi:[0,1]
	v_pk_add_f32 v[4:5], v[4:5], v[12:13] op_sel:[0,1] op_sel_hi:[1,0]
	v_pk_add_f32 v[10:11], v[10:11], v[32:33]
	v_pk_add_f32 v[4:5], v[4:5], v[20:21] op_sel:[0,1] op_sel_hi:[1,0]
	v_pk_add_f32 v[12:13], v[24:25], v[20:21] op_sel:[0,1] op_sel_hi:[1,0] neg_lo:[0,1] neg_hi:[0,1]
	v_pk_add_f32 v[10:11], v[10:11], v[14:15]
	v_mov_b32_e32 v20, v12
	v_mov_b32_e32 v21, v5
	v_pk_add_f32 v[10:11], v[10:11], v[18:19]
	v_pk_fma_f32 v[20:21], v[22:23], s[0:1], v[20:21] op_sel_hi:[1,0,1]
	ds_write2_b64 v132, v[10:11], v[20:21] offset1:44
	v_pk_add_f32 v[10:11], v[58:59], v[18:19]
	v_pk_add_f32 v[14:15], v[14:15], v[18:19] neg_lo:[0,1] neg_hi:[0,1]
	v_pk_fma_f32 v[6:7], v[10:11], 0.5, v[6:7] op_sel_hi:[1,0,1] neg_lo:[1,0,0] neg_hi:[1,0,0]
	v_pk_add_f32 v[10:11], v[32:33], v[58:59] neg_lo:[0,1] neg_hi:[0,1]
	v_pk_mul_f32 v[8:9], v[8:9], s[6:7] op_sel_hi:[1,0]
	v_pk_add_f32 v[10:11], v[10:11], v[14:15]
	v_pk_mul_f32 v[14:15], v[16:17], s[2:3] op_sel_hi:[1,0]
	v_mov_b32_e32 v5, v13
	v_pk_add_f32 v[16:17], v[6:7], v[14:15] op_sel:[0,1] op_sel_hi:[1,0]
	v_pk_add_f32 v[6:7], v[6:7], v[14:15] op_sel:[0,1] op_sel_hi:[1,0] neg_lo:[0,1] neg_hi:[0,1]
	v_pk_fma_f32 v[4:5], v[22:23], s[0:1], v[4:5] op_sel_hi:[1,0,1]
	v_pk_add_f32 v[6:7], v[6:7], v[8:9] op_sel:[0,1] op_sel_hi:[1,0]
	v_pk_add_f32 v[8:9], v[16:17], v[8:9] op_sel:[0,1] op_sel_hi:[1,0] neg_lo:[0,1] neg_hi:[0,1]
	v_mov_b32_e32 v15, v7
	v_mov_b32_e32 v14, v8
	;; [unrolled: 1-line block ×3, first 2 shown]
	v_pk_fma_f32 v[14:15], v[10:11], s[0:1], v[14:15] op_sel_hi:[1,0,1]
	v_pk_fma_f32 v[6:7], v[10:11], s[0:1], v[6:7] op_sel_hi:[1,0,1]
	ds_write2_b64 v132, v[14:15], v[6:7] offset0:88 offset1:132
	ds_write_b64 v132, v[4:5] offset:1408
	s_waitcnt lgkmcnt(0)
	s_barrier
	ds_read2_b64 v[4:7], v60 offset0:92 offset1:202
	ds_read2_b64 v[8:11], v96 offset1:110
	ds_read2_b64 v[12:15], v61 offset0:56 offset1:166
	ds_read2_b64 v[16:19], v62 offset0:20 offset1:130
	;; [unrolled: 1-line block ×3, first 2 shown]
	s_waitcnt lgkmcnt(4)
	v_pk_mul_f32 v[24:25], v[126:127], v[4:5]
	v_mov_b32_e32 v1, s3
	v_pk_fma_f32 v[26:27], v[48:49], v[4:5], v[24:25] op_sel:[0,0,1] op_sel_hi:[1,1,0]
	v_pk_fma_f32 v[4:5], v[48:49], v[4:5], v[24:25] op_sel:[0,0,1] op_sel_hi:[1,1,0] neg_lo:[0,0,1] neg_hi:[0,0,1]
	s_nop 0
	v_mov_b32_e32 v27, v5
	s_waitcnt lgkmcnt(2)
	v_pk_mul_f32 v[4:5], v[114:115], v[12:13]
	s_nop 0
	v_pk_fma_f32 v[24:25], v[50:51], v[12:13], v[4:5] op_sel:[0,0,1] op_sel_hi:[1,1,0]
	v_pk_fma_f32 v[4:5], v[50:51], v[12:13], v[4:5] op_sel:[0,0,1] op_sel_hi:[1,1,0] neg_lo:[0,0,1] neg_hi:[0,0,1]
	s_nop 0
	v_mov_b32_e32 v25, v5
	s_waitcnt lgkmcnt(1)
	v_pk_mul_f32 v[4:5], v[116:117], v[16:17]
	s_nop 0
	v_pk_fma_f32 v[12:13], v[40:41], v[16:17], v[4:5] op_sel:[0,0,1] op_sel_hi:[1,1,0]
	v_pk_fma_f32 v[4:5], v[40:41], v[16:17], v[4:5] op_sel:[0,0,1] op_sel_hi:[1,1,0] neg_lo:[0,0,1] neg_hi:[0,0,1]
	s_nop 0
	v_mov_b32_e32 v13, v5
	s_waitcnt lgkmcnt(0)
	v_pk_mul_f32 v[4:5], v[112:113], v[20:21]
	v_pk_add_f32 v[34:35], v[24:25], v[12:13] neg_lo:[0,1] neg_hi:[0,1]
	v_pk_fma_f32 v[16:17], v[42:43], v[20:21], v[4:5] op_sel:[0,0,1] op_sel_hi:[1,1,0]
	v_pk_fma_f32 v[4:5], v[42:43], v[20:21], v[4:5] op_sel:[0,0,1] op_sel_hi:[1,1,0] neg_lo:[0,0,1] neg_hi:[0,0,1]
	v_pk_mul_f32 v[20:21], v[120:121], v[6:7]
	v_mov_b32_e32 v17, v5
	v_pk_fma_f32 v[28:29], v[44:45], v[6:7], v[20:21] op_sel:[0,0,1] op_sel_hi:[1,1,0]
	v_pk_fma_f32 v[6:7], v[44:45], v[6:7], v[20:21] op_sel:[0,0,1] op_sel_hi:[1,1,0] neg_lo:[0,0,1] neg_hi:[0,0,1]
	v_pk_add_f32 v[30:31], v[26:27], v[16:17] neg_lo:[0,1] neg_hi:[0,1]
	v_mov_b32_e32 v29, v7
	v_pk_mul_f32 v[6:7], v[108:109], v[14:15]
	v_pk_mul_f32 v[32:33], v[30:31], s[2:3] op_sel_hi:[1,0]
	v_pk_fma_f32 v[20:21], v[46:47], v[14:15], v[6:7] op_sel:[0,0,1] op_sel_hi:[1,1,0]
	v_pk_fma_f32 v[6:7], v[46:47], v[14:15], v[6:7] op_sel:[0,0,1] op_sel_hi:[1,1,0] neg_lo:[0,0,1] neg_hi:[0,0,1]
	v_pk_add_f32 v[40:41], v[16:17], v[12:13] neg_lo:[0,1] neg_hi:[0,1]
	v_mov_b32_e32 v21, v7
	v_pk_mul_f32 v[6:7], v[118:119], v[18:19]
	v_pk_add_f32 v[4:5], v[8:9], v[26:27]
	v_pk_fma_f32 v[14:15], v[36:37], v[18:19], v[6:7] op_sel:[0,0,1] op_sel_hi:[1,1,0]
	v_pk_fma_f32 v[6:7], v[36:37], v[18:19], v[6:7] op_sel:[0,0,1] op_sel_hi:[1,1,0] neg_lo:[0,0,1] neg_hi:[0,0,1]
	v_pk_mul_f32 v[36:37], v[34:35], s[6:7] op_sel_hi:[1,0]
	v_mov_b32_e32 v15, v7
	v_pk_mul_f32 v[6:7], v[104:105], v[22:23]
	v_pk_add_f32 v[4:5], v[4:5], v[24:25]
	v_pk_fma_f32 v[18:19], v[38:39], v[22:23], v[6:7] op_sel:[0,0,1] op_sel_hi:[1,1,0]
	v_pk_fma_f32 v[6:7], v[38:39], v[22:23], v[6:7] op_sel:[0,0,1] op_sel_hi:[1,1,0] neg_lo:[0,0,1] neg_hi:[0,0,1]
	v_pk_add_f32 v[22:23], v[24:25], v[12:13]
	v_pk_add_f32 v[38:39], v[26:27], v[24:25] neg_lo:[0,1] neg_hi:[0,1]
	v_pk_fma_f32 v[22:23], v[22:23], 0.5, v[8:9] op_sel_hi:[1,0,1] neg_lo:[1,0,0] neg_hi:[1,0,0]
	v_pk_add_f32 v[38:39], v[38:39], v[40:41]
	v_pk_add_f32 v[40:41], v[22:23], v[32:33] op_sel:[0,1] op_sel_hi:[1,0] neg_lo:[0,1] neg_hi:[0,1]
	v_pk_add_f32 v[22:23], v[22:23], v[32:33] op_sel:[0,1] op_sel_hi:[1,0]
	v_pk_add_f32 v[32:33], v[40:41], v[36:37] op_sel:[0,1] op_sel_hi:[1,0] neg_lo:[0,1] neg_hi:[0,1]
	v_pk_add_f32 v[22:23], v[22:23], v[36:37] op_sel:[0,1] op_sel_hi:[1,0]
	v_mov_b32_e32 v36, v32
	v_mov_b32_e32 v37, v23
	v_pk_fma_f32 v[36:37], v[38:39], s[0:1], v[36:37] op_sel_hi:[1,0,1]
	v_pk_add_f32 v[4:5], v[4:5], v[12:13]
	ds_write_b64 v96, v[36:37] offset:1760
	v_pk_add_f32 v[36:37], v[26:27], v[16:17]
	v_pk_add_f32 v[4:5], v[4:5], v[16:17]
	v_pk_fma_f32 v[8:9], v[36:37], 0.5, v[8:9] op_sel_hi:[1,0,1] neg_lo:[1,0,0] neg_hi:[1,0,0]
	v_pk_add_f32 v[24:25], v[24:25], v[26:27] neg_lo:[0,1] neg_hi:[0,1]
	v_pk_add_f32 v[12:13], v[12:13], v[16:17] neg_lo:[0,1] neg_hi:[0,1]
	v_pk_mul_f32 v[16:17], v[34:35], s[2:3] op_sel_hi:[1,0]
	v_pk_add_f32 v[12:13], v[24:25], v[12:13]
	v_pk_mul_f32 v[24:25], v[30:31], s[6:7] op_sel_hi:[1,0]
	v_pk_add_f32 v[26:27], v[8:9], v[16:17] op_sel:[0,1] op_sel_hi:[1,0]
	v_pk_add_f32 v[8:9], v[8:9], v[16:17] op_sel:[0,1] op_sel_hi:[1,0] neg_lo:[0,1] neg_hi:[0,1]
	v_mov_b32_e32 v19, v7
	v_pk_add_f32 v[6:7], v[10:11], v[28:29]
	v_pk_add_f32 v[8:9], v[8:9], v[24:25] op_sel:[0,1] op_sel_hi:[1,0]
	v_pk_add_f32 v[16:17], v[26:27], v[24:25] op_sel:[0,1] op_sel_hi:[1,0] neg_lo:[0,1] neg_hi:[0,1]
	v_pk_add_f32 v[6:7], v[6:7], v[20:21]
	v_mov_b32_e32 v25, v9
	v_mov_b32_e32 v9, v17
	v_pk_add_f32 v[6:7], v[6:7], v[14:15]
	v_mov_b32_e32 v24, v16
	v_pk_fma_f32 v[8:9], v[12:13], s[0:1], v[8:9] op_sel_hi:[1,0,1]
	v_mov_b32_e32 v23, v33
	v_pk_add_f32 v[6:7], v[6:7], v[18:19]
	v_pk_fma_f32 v[24:25], v[12:13], s[0:1], v[24:25] op_sel_hi:[1,0,1]
	ds_write_b64 v96, v[8:9] offset:5280
	v_pk_fma_f32 v[8:9], v[38:39], s[0:1], v[22:23] op_sel_hi:[1,0,1]
	ds_write_b64 v96, v[24:25] offset:3520
	ds_write_b64 v96, v[8:9] offset:7040
	ds_write2_b64 v96, v[4:5], v[6:7] offset1:110
	v_pk_add_f32 v[4:5], v[20:21], v[14:15]
	v_pk_add_f32 v[6:7], v[28:29], v[18:19] neg_lo:[0,1] neg_hi:[0,1]
	v_pk_fma_f32 v[4:5], v[4:5], 0.5, v[10:11] op_sel_hi:[1,0,1] neg_lo:[1,0,0] neg_hi:[1,0,0]
	v_pk_mul_f32 v[8:9], v[6:7], s[2:3] op_sel_hi:[1,0]
	v_pk_add_f32 v[12:13], v[20:21], v[14:15] neg_lo:[0,1] neg_hi:[0,1]
	v_pk_add_f32 v[22:23], v[28:29], v[20:21] neg_lo:[0,1] neg_hi:[0,1]
	;; [unrolled: 1-line block ×3, first 2 shown]
	v_pk_mul_f32 v[16:17], v[12:13], s[6:7] op_sel_hi:[1,0]
	v_pk_add_f32 v[22:23], v[22:23], v[24:25]
	v_pk_add_f32 v[24:25], v[4:5], v[8:9] op_sel:[0,1] op_sel_hi:[1,0] neg_lo:[0,1] neg_hi:[0,1]
	v_pk_add_f32 v[4:5], v[4:5], v[8:9] op_sel:[0,1] op_sel_hi:[1,0]
	v_pk_add_f32 v[8:9], v[24:25], v[16:17] op_sel:[0,1] op_sel_hi:[1,0] neg_lo:[0,1] neg_hi:[0,1]
	v_pk_add_f32 v[4:5], v[4:5], v[16:17] op_sel:[0,1] op_sel_hi:[1,0]
	v_mov_b32_e32 v16, v8
	v_mov_b32_e32 v17, v5
	v_pk_fma_f32 v[16:17], v[22:23], s[0:1], v[16:17] op_sel_hi:[1,0,1]
	ds_write_b64 v96, v[16:17] offset:2640
	v_pk_add_f32 v[16:17], v[28:29], v[18:19]
	v_pk_add_f32 v[14:15], v[14:15], v[18:19] neg_lo:[0,1] neg_hi:[0,1]
	v_pk_fma_f32 v[10:11], v[16:17], 0.5, v[10:11] op_sel_hi:[1,0,1] neg_lo:[1,0,0] neg_hi:[1,0,0]
	v_pk_add_f32 v[16:17], v[20:21], v[28:29] neg_lo:[0,1] neg_hi:[0,1]
	v_pk_mul_f32 v[12:13], v[12:13], s[2:3] op_sel_hi:[1,0]
	v_pk_add_f32 v[14:15], v[16:17], v[14:15]
	v_pk_mul_f32 v[6:7], v[6:7], s[6:7] op_sel_hi:[1,0]
	v_pk_add_f32 v[16:17], v[10:11], v[12:13] op_sel:[0,1] op_sel_hi:[1,0]
	v_pk_add_f32 v[10:11], v[10:11], v[12:13] op_sel:[0,1] op_sel_hi:[1,0] neg_lo:[0,1] neg_hi:[0,1]
	v_mov_b32_e32 v5, v9
	v_pk_add_f32 v[10:11], v[10:11], v[6:7] op_sel:[0,1] op_sel_hi:[1,0]
	v_pk_add_f32 v[6:7], v[16:17], v[6:7] op_sel:[0,1] op_sel_hi:[1,0] neg_lo:[0,1] neg_hi:[0,1]
	v_mov_b32_e32 v13, v11
	v_mov_b32_e32 v12, v6
	;; [unrolled: 1-line block ×3, first 2 shown]
	v_pk_fma_f32 v[12:13], v[14:15], s[0:1], v[12:13] op_sel_hi:[1,0,1]
	v_pk_fma_f32 v[6:7], v[14:15], s[0:1], v[10:11] op_sel_hi:[1,0,1]
	;; [unrolled: 1-line block ×3, first 2 shown]
	ds_write_b64 v96, v[12:13] offset:4400
	ds_write_b64 v96, v[6:7] offset:6160
	;; [unrolled: 1-line block ×3, first 2 shown]
	s_waitcnt lgkmcnt(0)
	s_barrier
	ds_read2_b64 v[4:7], v96 offset1:110
	v_mov_b32_e32 v8, v3
	v_mad_u64_u32 v[8:9], s[0:1], s7, v86, v[8:9]
	v_mov_b32_e32 v3, v8
	s_waitcnt lgkmcnt(0)
	v_mul_f32_e32 v8, v95, v5
	v_fmac_f32_e32 v8, v94, v4
	v_mul_f32_e32 v4, v95, v4
	s_mov_b32 s0, 0xdca01dca
	v_fma_f32 v4, v94, v5, -v4
	s_mov_b32 s1, 0x3f4dca01
	v_cvt_f64_f32_e32 v[4:5], v4
	v_cvt_f64_f32_e32 v[8:9], v8
	v_mul_f64 v[4:5], v[4:5], s[0:1]
	v_mul_f64 v[8:9], v[8:9], s[0:1]
	v_cvt_f32_f64_e32 v13, v[4:5]
	v_mad_u64_u32 v[4:5], s[2:3], s4, v76, 0
	v_cvt_f32_f64_e32 v12, v[8:9]
	v_mov_b32_e32 v8, v5
	v_mad_u64_u32 v[14:15], s[2:3], s5, v76, v[8:9]
	ds_read2_b64 v[8:11], v61 offset0:56 offset1:166
	v_lshl_add_u64 v[0:1], v[2:3], 3, v[0:1]
	v_mov_b32_e32 v5, v14
	v_lshl_add_u64 v[0:1], v[4:5], 3, v[0:1]
	v_mov_b32_e32 v14, 0x1130
	s_waitcnt lgkmcnt(0)
	v_mul_f32_e32 v2, v91, v11
	v_fmac_f32_e32 v2, v90, v10
	v_cvt_f64_f32_e32 v[2:3], v2
	v_mul_f64 v[2:3], v[2:3], s[0:1]
	v_cvt_f32_f64_e32 v2, v[2:3]
	v_mul_f32_e32 v3, v91, v10
	v_fma_f32 v3, v90, v11, -v3
	v_cvt_f64_f32_e32 v[4:5], v3
	global_store_dwordx2 v[0:1], v[12:13], off
	v_mul_f64 v[4:5], v[4:5], s[0:1]
	v_mad_u64_u32 v[0:1], s[2:3], s4, v14, v[0:1]
	s_mul_i32 s6, s5, 0x1130
	v_cvt_f32_f64_e32 v3, v[4:5]
	v_add_u32_e32 v1, s6, v1
	global_store_dwordx2 v[0:1], v[2:3], off
	v_mul_f32_e32 v2, v93, v7
	v_fmac_f32_e32 v2, v92, v6
	v_cvt_f64_f32_e32 v[2:3], v2
	v_mul_f64 v[2:3], v[2:3], s[0:1]
	v_cvt_f32_f64_e32 v4, v[2:3]
	v_mul_f32_e32 v2, v93, v6
	v_fma_f32 v2, v92, v7, -v2
	v_cvt_f64_f32_e32 v[2:3], v2
	v_mul_f64 v[2:3], v[2:3], s[0:1]
	v_mov_b32_e32 v15, 0xfffff240
	v_cvt_f32_f64_e32 v5, v[2:3]
	v_mad_u64_u32 v[10:11], s[2:3], s4, v15, v[0:1]
	ds_read2_b64 v[0:3], v62 offset0:20 offset1:130
	s_mul_i32 s2, s5, 0xfffff240
	s_sub_i32 s5, s2, s4
	v_add_u32_e32 v11, s5, v11
	global_store_dwordx2 v[10:11], v[4:5], off
	s_waitcnt lgkmcnt(0)
	v_mul_f32_e32 v4, v89, v1
	v_fmac_f32_e32 v4, v88, v0
	v_cvt_f64_f32_e32 v[4:5], v4
	v_mul_f64 v[4:5], v[4:5], s[0:1]
	v_cvt_f32_f64_e32 v12, v[4:5]
	ds_read2_b64 v[4:7], v60 offset0:92 offset1:202
	v_mul_f32_e32 v0, v89, v0
	v_fma_f32 v0, v88, v1, -v0
	v_cvt_f64_f32_e32 v[0:1], v0
	v_mul_f64 v[0:1], v[0:1], s[0:1]
	v_cvt_f32_f64_e32 v13, v[0:1]
	v_mad_u64_u32 v[0:1], s[2:3], s4, v14, v[10:11]
	s_waitcnt lgkmcnt(0)
	v_mul_f32_e32 v10, v85, v5
	v_fmac_f32_e32 v10, v84, v4
	v_mul_f32_e32 v4, v85, v4
	v_fma_f32 v4, v84, v5, -v4
	v_cvt_f64_f32_e32 v[10:11], v10
	v_cvt_f64_f32_e32 v[4:5], v4
	v_add_u32_e32 v1, s6, v1
	v_mul_f64 v[10:11], v[10:11], s[0:1]
	v_mul_f64 v[4:5], v[4:5], s[0:1]
	global_store_dwordx2 v[0:1], v[12:13], off
	v_cvt_f32_f64_e32 v10, v[10:11]
	v_cvt_f32_f64_e32 v11, v[4:5]
	v_mad_u64_u32 v[0:1], s[2:3], s4, v15, v[0:1]
	v_mul_f32_e32 v4, v83, v3
	v_add_u32_e32 v1, s5, v1
	v_fmac_f32_e32 v4, v82, v2
	v_mul_f32_e32 v2, v83, v2
	global_store_dwordx2 v[0:1], v[10:11], off
	v_fma_f32 v2, v82, v3, -v2
	v_mad_u64_u32 v[10:11], s[2:3], s4, v14, v[0:1]
	v_mul_f32_e32 v0, v81, v7
	v_cvt_f64_f32_e32 v[4:5], v4
	v_cvt_f64_f32_e32 v[2:3], v2
	v_fmac_f32_e32 v0, v80, v6
	v_mul_f64 v[4:5], v[4:5], s[0:1]
	v_mul_f64 v[2:3], v[2:3], s[0:1]
	v_cvt_f64_f32_e32 v[0:1], v0
	v_cvt_f32_f64_e32 v4, v[4:5]
	v_cvt_f32_f64_e32 v5, v[2:3]
	v_add_u32_e32 v11, s6, v11
	v_mul_f64 v[0:1], v[0:1], s[0:1]
	global_store_dwordx2 v[10:11], v[4:5], off
	v_cvt_f32_f64_e32 v4, v[0:1]
	v_mul_f32_e32 v0, v81, v6
	v_fma_f32 v0, v80, v7, -v0
	v_cvt_f64_f32_e32 v[0:1], v0
	v_mul_f64 v[0:1], v[0:1], s[0:1]
	v_cvt_f32_f64_e32 v5, v[0:1]
	ds_read2_b64 v[0:3], v63 offset0:112 offset1:222
	v_mad_u64_u32 v[6:7], s[2:3], s4, v15, v[10:11]
	v_add_u32_e32 v7, s5, v7
	global_store_dwordx2 v[6:7], v[4:5], off
	s_waitcnt lgkmcnt(0)
	v_mul_f32_e32 v4, v79, v1
	v_fmac_f32_e32 v4, v78, v0
	v_mul_f32_e32 v0, v79, v0
	v_fma_f32 v0, v78, v1, -v0
	v_cvt_f64_f32_e32 v[4:5], v4
	v_cvt_f64_f32_e32 v[0:1], v0
	v_mul_f64 v[4:5], v[4:5], s[0:1]
	v_mul_f64 v[0:1], v[0:1], s[0:1]
	v_cvt_f32_f64_e32 v4, v[4:5]
	v_cvt_f32_f64_e32 v5, v[0:1]
	v_mad_u64_u32 v[0:1], s[2:3], s4, v14, v[6:7]
	v_add_u32_e32 v1, s6, v1
	global_store_dwordx2 v[0:1], v[4:5], off
	v_mul_f32_e32 v4, v75, v9
	v_fmac_f32_e32 v4, v74, v8
	v_cvt_f64_f32_e32 v[4:5], v4
	v_mul_f64 v[4:5], v[4:5], s[0:1]
	v_cvt_f32_f64_e32 v4, v[4:5]
	v_mul_f32_e32 v5, v75, v8
	v_fma_f32 v5, v74, v9, -v5
	v_cvt_f64_f32_e32 v[6:7], v5
	v_mul_f64 v[6:7], v[6:7], s[0:1]
	v_mad_u64_u32 v[0:1], s[2:3], s4, v15, v[0:1]
	v_cvt_f32_f64_e32 v5, v[6:7]
	v_add_u32_e32 v1, s5, v1
	global_store_dwordx2 v[0:1], v[4:5], off
	v_mul_f32_e32 v4, v73, v3
	v_fmac_f32_e32 v4, v72, v2
	v_mul_f32_e32 v2, v73, v2
	v_fma_f32 v2, v72, v3, -v2
	v_cvt_f64_f32_e32 v[4:5], v4
	v_cvt_f64_f32_e32 v[2:3], v2
	v_mul_f64 v[4:5], v[4:5], s[0:1]
	v_mul_f64 v[2:3], v[2:3], s[0:1]
	v_mad_u64_u32 v[0:1], s[0:1], s4, v14, v[0:1]
	v_cvt_f32_f64_e32 v4, v[4:5]
	v_cvt_f32_f64_e32 v5, v[2:3]
	v_add_u32_e32 v1, s6, v1
	global_store_dwordx2 v[0:1], v[4:5], off
.LBB0_10:
	s_endpgm
	.section	.rodata,"a",@progbits
	.p2align	6, 0x0
	.amdhsa_kernel bluestein_single_back_len1100_dim1_sp_op_CI_CI
		.amdhsa_group_segment_fixed_size 8800
		.amdhsa_private_segment_fixed_size 0
		.amdhsa_kernarg_size 104
		.amdhsa_user_sgpr_count 2
		.amdhsa_user_sgpr_dispatch_ptr 0
		.amdhsa_user_sgpr_queue_ptr 0
		.amdhsa_user_sgpr_kernarg_segment_ptr 1
		.amdhsa_user_sgpr_dispatch_id 0
		.amdhsa_user_sgpr_kernarg_preload_length 0
		.amdhsa_user_sgpr_kernarg_preload_offset 0
		.amdhsa_user_sgpr_private_segment_size 0
		.amdhsa_uses_dynamic_stack 0
		.amdhsa_enable_private_segment 0
		.amdhsa_system_sgpr_workgroup_id_x 1
		.amdhsa_system_sgpr_workgroup_id_y 0
		.amdhsa_system_sgpr_workgroup_id_z 0
		.amdhsa_system_sgpr_workgroup_info 0
		.amdhsa_system_vgpr_workitem_id 0
		.amdhsa_next_free_vgpr 200
		.amdhsa_next_free_sgpr 38
		.amdhsa_accum_offset 200
		.amdhsa_reserve_vcc 1
		.amdhsa_float_round_mode_32 0
		.amdhsa_float_round_mode_16_64 0
		.amdhsa_float_denorm_mode_32 3
		.amdhsa_float_denorm_mode_16_64 3
		.amdhsa_dx10_clamp 1
		.amdhsa_ieee_mode 1
		.amdhsa_fp16_overflow 0
		.amdhsa_tg_split 0
		.amdhsa_exception_fp_ieee_invalid_op 0
		.amdhsa_exception_fp_denorm_src 0
		.amdhsa_exception_fp_ieee_div_zero 0
		.amdhsa_exception_fp_ieee_overflow 0
		.amdhsa_exception_fp_ieee_underflow 0
		.amdhsa_exception_fp_ieee_inexact 0
		.amdhsa_exception_int_div_zero 0
	.end_amdhsa_kernel
	.text
.Lfunc_end0:
	.size	bluestein_single_back_len1100_dim1_sp_op_CI_CI, .Lfunc_end0-bluestein_single_back_len1100_dim1_sp_op_CI_CI
                                        ; -- End function
	.section	.AMDGPU.csdata,"",@progbits
; Kernel info:
; codeLenInByte = 11788
; NumSgprs: 44
; NumVgprs: 200
; NumAgprs: 0
; TotalNumVgprs: 200
; ScratchSize: 0
; MemoryBound: 0
; FloatMode: 240
; IeeeMode: 1
; LDSByteSize: 8800 bytes/workgroup (compile time only)
; SGPRBlocks: 5
; VGPRBlocks: 24
; NumSGPRsForWavesPerEU: 44
; NumVGPRsForWavesPerEU: 200
; AccumOffset: 200
; Occupancy: 2
; WaveLimiterHint : 1
; COMPUTE_PGM_RSRC2:SCRATCH_EN: 0
; COMPUTE_PGM_RSRC2:USER_SGPR: 2
; COMPUTE_PGM_RSRC2:TRAP_HANDLER: 0
; COMPUTE_PGM_RSRC2:TGID_X_EN: 1
; COMPUTE_PGM_RSRC2:TGID_Y_EN: 0
; COMPUTE_PGM_RSRC2:TGID_Z_EN: 0
; COMPUTE_PGM_RSRC2:TIDIG_COMP_CNT: 0
; COMPUTE_PGM_RSRC3_GFX90A:ACCUM_OFFSET: 49
; COMPUTE_PGM_RSRC3_GFX90A:TG_SPLIT: 0
	.text
	.p2alignl 6, 3212836864
	.fill 256, 4, 3212836864
	.type	__hip_cuid_2de6951b4c33f3e1,@object ; @__hip_cuid_2de6951b4c33f3e1
	.section	.bss,"aw",@nobits
	.globl	__hip_cuid_2de6951b4c33f3e1
__hip_cuid_2de6951b4c33f3e1:
	.byte	0                               ; 0x0
	.size	__hip_cuid_2de6951b4c33f3e1, 1

	.ident	"AMD clang version 19.0.0git (https://github.com/RadeonOpenCompute/llvm-project roc-6.4.0 25133 c7fe45cf4b819c5991fe208aaa96edf142730f1d)"
	.section	".note.GNU-stack","",@progbits
	.addrsig
	.addrsig_sym __hip_cuid_2de6951b4c33f3e1
	.amdgpu_metadata
---
amdhsa.kernels:
  - .agpr_count:     0
    .args:
      - .actual_access:  read_only
        .address_space:  global
        .offset:         0
        .size:           8
        .value_kind:     global_buffer
      - .actual_access:  read_only
        .address_space:  global
        .offset:         8
        .size:           8
        .value_kind:     global_buffer
      - .actual_access:  read_only
        .address_space:  global
        .offset:         16
        .size:           8
        .value_kind:     global_buffer
      - .actual_access:  read_only
        .address_space:  global
        .offset:         24
        .size:           8
        .value_kind:     global_buffer
      - .actual_access:  read_only
        .address_space:  global
        .offset:         32
        .size:           8
        .value_kind:     global_buffer
      - .offset:         40
        .size:           8
        .value_kind:     by_value
      - .address_space:  global
        .offset:         48
        .size:           8
        .value_kind:     global_buffer
      - .address_space:  global
        .offset:         56
        .size:           8
        .value_kind:     global_buffer
      - .address_space:  global
        .offset:         64
        .size:           8
        .value_kind:     global_buffer
      - .address_space:  global
        .offset:         72
        .size:           8
        .value_kind:     global_buffer
      - .offset:         80
        .size:           4
        .value_kind:     by_value
      - .address_space:  global
        .offset:         88
        .size:           8
        .value_kind:     global_buffer
      - .address_space:  global
        .offset:         96
        .size:           8
        .value_kind:     global_buffer
    .group_segment_fixed_size: 8800
    .kernarg_segment_align: 8
    .kernarg_segment_size: 104
    .language:       OpenCL C
    .language_version:
      - 2
      - 0
    .max_flat_workgroup_size: 110
    .name:           bluestein_single_back_len1100_dim1_sp_op_CI_CI
    .private_segment_fixed_size: 0
    .sgpr_count:     44
    .sgpr_spill_count: 0
    .symbol:         bluestein_single_back_len1100_dim1_sp_op_CI_CI.kd
    .uniform_work_group_size: 1
    .uses_dynamic_stack: false
    .vgpr_count:     200
    .vgpr_spill_count: 0
    .wavefront_size: 64
amdhsa.target:   amdgcn-amd-amdhsa--gfx950
amdhsa.version:
  - 1
  - 2
...

	.end_amdgpu_metadata
